;; amdgpu-corpus repo=ROCm/rocFFT kind=compiled arch=gfx906 opt=O3
	.text
	.amdgcn_target "amdgcn-amd-amdhsa--gfx906"
	.amdhsa_code_object_version 6
	.protected	fft_rtc_fwd_len3456_factors_6_6_6_4_4_wgs_144_tpt_144_halfLds_sp_ip_CI_unitstride_sbrr_R2C_dirReg ; -- Begin function fft_rtc_fwd_len3456_factors_6_6_6_4_4_wgs_144_tpt_144_halfLds_sp_ip_CI_unitstride_sbrr_R2C_dirReg
	.globl	fft_rtc_fwd_len3456_factors_6_6_6_4_4_wgs_144_tpt_144_halfLds_sp_ip_CI_unitstride_sbrr_R2C_dirReg
	.p2align	8
	.type	fft_rtc_fwd_len3456_factors_6_6_6_4_4_wgs_144_tpt_144_halfLds_sp_ip_CI_unitstride_sbrr_R2C_dirReg,@function
fft_rtc_fwd_len3456_factors_6_6_6_4_4_wgs_144_tpt_144_halfLds_sp_ip_CI_unitstride_sbrr_R2C_dirReg: ; @fft_rtc_fwd_len3456_factors_6_6_6_4_4_wgs_144_tpt_144_halfLds_sp_ip_CI_unitstride_sbrr_R2C_dirReg
; %bb.0:
	s_load_dwordx2 s[2:3], s[4:5], 0x50
	s_load_dwordx4 s[8:11], s[4:5], 0x0
	s_load_dwordx2 s[12:13], s[4:5], 0x18
	v_mul_u32_u24_e32 v1, 0x1c8, v0
	v_add_u32_sdwa v5, s6, v1 dst_sel:DWORD dst_unused:UNUSED_PAD src0_sel:DWORD src1_sel:WORD_1
	v_mov_b32_e32 v3, 0
	s_waitcnt lgkmcnt(0)
	v_cmp_lt_u64_e64 s[0:1], s[10:11], 2
	v_mov_b32_e32 v1, 0
	v_mov_b32_e32 v6, v3
	s_and_b64 vcc, exec, s[0:1]
	v_mov_b32_e32 v2, 0
	s_cbranch_vccnz .LBB0_8
; %bb.1:
	s_load_dwordx2 s[0:1], s[4:5], 0x10
	s_add_u32 s6, s12, 8
	s_addc_u32 s7, s13, 0
	v_mov_b32_e32 v1, 0
	v_mov_b32_e32 v2, 0
	s_waitcnt lgkmcnt(0)
	s_add_u32 s14, s0, 8
	s_addc_u32 s15, s1, 0
	s_mov_b64 s[16:17], 1
.LBB0_2:                                ; =>This Inner Loop Header: Depth=1
	s_load_dwordx2 s[18:19], s[14:15], 0x0
                                        ; implicit-def: $vgpr7_vgpr8
	s_waitcnt lgkmcnt(0)
	v_or_b32_e32 v4, s19, v6
	v_cmp_ne_u64_e32 vcc, 0, v[3:4]
	s_and_saveexec_b64 s[0:1], vcc
	s_xor_b64 s[20:21], exec, s[0:1]
	s_cbranch_execz .LBB0_4
; %bb.3:                                ;   in Loop: Header=BB0_2 Depth=1
	v_cvt_f32_u32_e32 v4, s18
	v_cvt_f32_u32_e32 v7, s19
	s_sub_u32 s0, 0, s18
	s_subb_u32 s1, 0, s19
	v_mac_f32_e32 v4, 0x4f800000, v7
	v_rcp_f32_e32 v4, v4
	v_mul_f32_e32 v4, 0x5f7ffffc, v4
	v_mul_f32_e32 v7, 0x2f800000, v4
	v_trunc_f32_e32 v7, v7
	v_mac_f32_e32 v4, 0xcf800000, v7
	v_cvt_u32_f32_e32 v7, v7
	v_cvt_u32_f32_e32 v4, v4
	v_mul_lo_u32 v8, s0, v7
	v_mul_hi_u32 v9, s0, v4
	v_mul_lo_u32 v11, s1, v4
	v_mul_lo_u32 v10, s0, v4
	v_add_u32_e32 v8, v9, v8
	v_add_u32_e32 v8, v8, v11
	v_mul_hi_u32 v9, v4, v10
	v_mul_lo_u32 v11, v4, v8
	v_mul_hi_u32 v13, v4, v8
	v_mul_hi_u32 v12, v7, v10
	v_mul_lo_u32 v10, v7, v10
	v_mul_hi_u32 v14, v7, v8
	v_add_co_u32_e32 v9, vcc, v9, v11
	v_addc_co_u32_e32 v11, vcc, 0, v13, vcc
	v_mul_lo_u32 v8, v7, v8
	v_add_co_u32_e32 v9, vcc, v9, v10
	v_addc_co_u32_e32 v9, vcc, v11, v12, vcc
	v_addc_co_u32_e32 v10, vcc, 0, v14, vcc
	v_add_co_u32_e32 v8, vcc, v9, v8
	v_addc_co_u32_e32 v9, vcc, 0, v10, vcc
	v_add_co_u32_e32 v4, vcc, v4, v8
	v_addc_co_u32_e32 v7, vcc, v7, v9, vcc
	v_mul_lo_u32 v8, s0, v7
	v_mul_hi_u32 v9, s0, v4
	v_mul_lo_u32 v10, s1, v4
	v_mul_lo_u32 v11, s0, v4
	v_add_u32_e32 v8, v9, v8
	v_add_u32_e32 v8, v8, v10
	v_mul_lo_u32 v12, v4, v8
	v_mul_hi_u32 v13, v4, v11
	v_mul_hi_u32 v14, v4, v8
	;; [unrolled: 1-line block ×3, first 2 shown]
	v_mul_lo_u32 v11, v7, v11
	v_mul_hi_u32 v9, v7, v8
	v_add_co_u32_e32 v12, vcc, v13, v12
	v_addc_co_u32_e32 v13, vcc, 0, v14, vcc
	v_mul_lo_u32 v8, v7, v8
	v_add_co_u32_e32 v11, vcc, v12, v11
	v_addc_co_u32_e32 v10, vcc, v13, v10, vcc
	v_addc_co_u32_e32 v9, vcc, 0, v9, vcc
	v_add_co_u32_e32 v8, vcc, v10, v8
	v_addc_co_u32_e32 v9, vcc, 0, v9, vcc
	v_add_co_u32_e32 v4, vcc, v4, v8
	v_addc_co_u32_e32 v9, vcc, v7, v9, vcc
	v_mad_u64_u32 v[7:8], s[0:1], v5, v9, 0
	v_mul_hi_u32 v10, v5, v4
	v_add_co_u32_e32 v11, vcc, v10, v7
	v_addc_co_u32_e32 v12, vcc, 0, v8, vcc
	v_mad_u64_u32 v[7:8], s[0:1], v6, v4, 0
	v_mad_u64_u32 v[9:10], s[0:1], v6, v9, 0
	v_add_co_u32_e32 v4, vcc, v11, v7
	v_addc_co_u32_e32 v4, vcc, v12, v8, vcc
	v_addc_co_u32_e32 v7, vcc, 0, v10, vcc
	v_add_co_u32_e32 v4, vcc, v4, v9
	v_addc_co_u32_e32 v9, vcc, 0, v7, vcc
	v_mul_lo_u32 v10, s19, v4
	v_mul_lo_u32 v11, s18, v9
	v_mad_u64_u32 v[7:8], s[0:1], s18, v4, 0
	v_add3_u32 v8, v8, v11, v10
	v_sub_u32_e32 v10, v6, v8
	v_mov_b32_e32 v11, s19
	v_sub_co_u32_e32 v7, vcc, v5, v7
	v_subb_co_u32_e64 v10, s[0:1], v10, v11, vcc
	v_subrev_co_u32_e64 v11, s[0:1], s18, v7
	v_subbrev_co_u32_e64 v10, s[0:1], 0, v10, s[0:1]
	v_cmp_le_u32_e64 s[0:1], s19, v10
	v_cndmask_b32_e64 v12, 0, -1, s[0:1]
	v_cmp_le_u32_e64 s[0:1], s18, v11
	v_cndmask_b32_e64 v11, 0, -1, s[0:1]
	v_cmp_eq_u32_e64 s[0:1], s19, v10
	v_cndmask_b32_e64 v10, v12, v11, s[0:1]
	v_add_co_u32_e64 v11, s[0:1], 2, v4
	v_addc_co_u32_e64 v12, s[0:1], 0, v9, s[0:1]
	v_add_co_u32_e64 v13, s[0:1], 1, v4
	v_addc_co_u32_e64 v14, s[0:1], 0, v9, s[0:1]
	v_subb_co_u32_e32 v8, vcc, v6, v8, vcc
	v_cmp_ne_u32_e64 s[0:1], 0, v10
	v_cmp_le_u32_e32 vcc, s19, v8
	v_cndmask_b32_e64 v10, v14, v12, s[0:1]
	v_cndmask_b32_e64 v12, 0, -1, vcc
	v_cmp_le_u32_e32 vcc, s18, v7
	v_cndmask_b32_e64 v7, 0, -1, vcc
	v_cmp_eq_u32_e32 vcc, s19, v8
	v_cndmask_b32_e32 v7, v12, v7, vcc
	v_cmp_ne_u32_e32 vcc, 0, v7
	v_cndmask_b32_e64 v7, v13, v11, s[0:1]
	v_cndmask_b32_e32 v8, v9, v10, vcc
	v_cndmask_b32_e32 v7, v4, v7, vcc
.LBB0_4:                                ;   in Loop: Header=BB0_2 Depth=1
	s_andn2_saveexec_b64 s[0:1], s[20:21]
	s_cbranch_execz .LBB0_6
; %bb.5:                                ;   in Loop: Header=BB0_2 Depth=1
	v_cvt_f32_u32_e32 v4, s18
	s_sub_i32 s20, 0, s18
	v_rcp_iflag_f32_e32 v4, v4
	v_mul_f32_e32 v4, 0x4f7ffffe, v4
	v_cvt_u32_f32_e32 v4, v4
	v_mul_lo_u32 v7, s20, v4
	v_mul_hi_u32 v7, v4, v7
	v_add_u32_e32 v4, v4, v7
	v_mul_hi_u32 v4, v5, v4
	v_mul_lo_u32 v7, v4, s18
	v_add_u32_e32 v8, 1, v4
	v_sub_u32_e32 v7, v5, v7
	v_subrev_u32_e32 v9, s18, v7
	v_cmp_le_u32_e32 vcc, s18, v7
	v_cndmask_b32_e32 v7, v7, v9, vcc
	v_cndmask_b32_e32 v4, v4, v8, vcc
	v_add_u32_e32 v8, 1, v4
	v_cmp_le_u32_e32 vcc, s18, v7
	v_cndmask_b32_e32 v7, v4, v8, vcc
	v_mov_b32_e32 v8, v3
.LBB0_6:                                ;   in Loop: Header=BB0_2 Depth=1
	s_or_b64 exec, exec, s[0:1]
	v_mul_lo_u32 v4, v8, s18
	v_mul_lo_u32 v11, v7, s19
	v_mad_u64_u32 v[9:10], s[0:1], v7, s18, 0
	s_load_dwordx2 s[0:1], s[6:7], 0x0
	s_add_u32 s16, s16, 1
	v_add3_u32 v4, v10, v11, v4
	v_sub_co_u32_e32 v5, vcc, v5, v9
	v_subb_co_u32_e32 v4, vcc, v6, v4, vcc
	s_waitcnt lgkmcnt(0)
	v_mul_lo_u32 v4, s0, v4
	v_mul_lo_u32 v6, s1, v5
	v_mad_u64_u32 v[1:2], s[0:1], s0, v5, v[1:2]
	s_addc_u32 s17, s17, 0
	s_add_u32 s6, s6, 8
	v_add3_u32 v2, v6, v2, v4
	v_mov_b32_e32 v4, s10
	v_mov_b32_e32 v5, s11
	s_addc_u32 s7, s7, 0
	v_cmp_ge_u64_e32 vcc, s[16:17], v[4:5]
	s_add_u32 s14, s14, 8
	s_addc_u32 s15, s15, 0
	s_cbranch_vccnz .LBB0_9
; %bb.7:                                ;   in Loop: Header=BB0_2 Depth=1
	v_mov_b32_e32 v5, v7
	v_mov_b32_e32 v6, v8
	s_branch .LBB0_2
.LBB0_8:
	v_mov_b32_e32 v8, v6
	v_mov_b32_e32 v7, v5
.LBB0_9:
	s_lshl_b64 s[0:1], s[10:11], 3
	s_add_u32 s0, s12, s0
	s_addc_u32 s1, s13, s1
	s_load_dwordx2 s[6:7], s[0:1], 0x0
	s_load_dwordx2 s[10:11], s[4:5], 0x20
                                        ; implicit-def: $vgpr10
                                        ; implicit-def: $vgpr9
                                        ; implicit-def: $vgpr6
	s_waitcnt lgkmcnt(0)
	v_mad_u64_u32 v[1:2], s[0:1], s6, v7, v[1:2]
	s_mov_b32 s0, 0x1c71c72
	v_mul_lo_u32 v3, s6, v8
	v_mul_lo_u32 v4, s7, v7
	v_mul_hi_u32 v5, v0, s0
	v_cmp_gt_u64_e64 s[0:1], s[10:11], v[7:8]
	v_cmp_le_u64_e32 vcc, s[10:11], v[7:8]
	v_add3_u32 v2, v4, v2, v3
	v_mul_u32_u24_e32 v3, 0x90, v5
	v_sub_u32_e32 v0, v0, v3
                                        ; implicit-def: $vgpr4
                                        ; implicit-def: $vgpr8
	s_and_saveexec_b64 s[4:5], vcc
	s_xor_b64 s[4:5], exec, s[4:5]
; %bb.10:
	v_add_u32_e32 v4, 0x90, v0
	v_add_u32_e32 v10, 0x120, v0
	;; [unrolled: 1-line block ×5, first 2 shown]
; %bb.11:
	s_or_saveexec_b64 s[4:5], s[4:5]
	v_lshlrev_b64 v[2:3], 3, v[1:2]
	s_xor_b64 exec, exec, s[4:5]
	s_cbranch_execz .LBB0_13
; %bb.12:
	v_mov_b32_e32 v1, 0
	v_mov_b32_e32 v4, s3
	v_add_co_u32_e32 v28, vcc, s2, v2
	v_addc_co_u32_e32 v29, vcc, v4, v3, vcc
	v_lshlrev_b64 v[4:5], 3, v[0:1]
	s_movk_i32 s6, 0x1000
	v_add_co_u32_e32 v4, vcc, v28, v4
	v_addc_co_u32_e32 v5, vcc, v29, v5, vcc
	v_add_co_u32_e32 v8, vcc, s6, v4
	v_addc_co_u32_e32 v9, vcc, 0, v5, vcc
	s_movk_i32 s6, 0x2000
	global_load_dwordx2 v[6:7], v[4:5], off offset:3456
	global_load_dwordx2 v[10:11], v[8:9], off offset:512
	;; [unrolled: 1-line block ×5, first 2 shown]
	v_add_co_u32_e32 v8, vcc, s6, v4
	v_addc_co_u32_e32 v9, vcc, 0, v5, vcc
	s_movk_i32 s6, 0x3000
	v_add_co_u32_e32 v18, vcc, s6, v4
	v_addc_co_u32_e32 v19, vcc, 0, v5, vcc
	global_load_dwordx2 v[20:21], v[8:9], off offset:1024
	global_load_dwordx2 v[22:23], v[8:9], off offset:2176
	;; [unrolled: 1-line block ×4, first 2 shown]
	v_or_b32_e32 v8, 0x900, v0
	v_mov_b32_e32 v9, v1
	v_lshlrev_b64 v[8:9], 3, v[8:9]
	s_movk_i32 s6, 0x4000
	v_add_co_u32_e32 v8, vcc, v28, v8
	v_addc_co_u32_e32 v9, vcc, v29, v9, vcc
	v_add_co_u32_e32 v28, vcc, s6, v4
	v_addc_co_u32_e32 v29, vcc, 0, v5, vcc
	s_movk_i32 s6, 0x5000
	global_load_dwordx2 v[30:31], v[18:19], off offset:1536
	global_load_dwordx2 v[32:33], v[18:19], off offset:2688
	;; [unrolled: 1-line block ×4, first 2 shown]
	global_load_dwordx2 v[38:39], v[4:5], off
	global_load_dwordx2 v[40:41], v[4:5], off offset:2304
	global_load_dwordx2 v[42:43], v[4:5], off offset:1152
	v_add_co_u32_e32 v18, vcc, s6, v4
	v_addc_co_u32_e32 v19, vcc, 0, v5, vcc
	v_add_co_u32_e32 v4, vcc, 0x6000, v4
	global_load_dwordx2 v[44:45], v[18:19], off offset:1408
	global_load_dwordx2 v[46:47], v[8:9], off
	global_load_dwordx2 v[48:49], v[28:29], off offset:3200
	global_load_dwordx2 v[50:51], v[18:19], off offset:256
	v_addc_co_u32_e32 v5, vcc, 0, v5, vcc
	global_load_dwordx2 v[28:29], v[18:19], off offset:2560
	global_load_dwordx2 v[52:53], v[18:19], off offset:3712
	s_nop 0
	global_load_dwordx2 v[18:19], v[4:5], off offset:768
	global_load_dwordx2 v[54:55], v[4:5], off offset:1920
	v_lshl_add_u32 v1, v0, 3, 0
	v_add_u32_e32 v4, 0x800, v1
	v_add_u32_e32 v5, 0x1000, v1
	;; [unrolled: 1-line block ×6, first 2 shown]
	s_waitcnt vmcnt(9)
	ds_write2_b64 v4, v[40:41], v[6:7] offset0:32 offset1:176
	ds_write2_b64 v5, v[10:11], v[12:13] offset0:64 offset1:208
	ds_write2_b64 v8, v[14:15], v[16:17] offset0:96 offset1:240
	ds_write2_b64 v9, v[20:21], v[22:23] offset1:144
	ds_write2_b64 v56, v[24:25], v[26:27] offset0:32 offset1:176
	ds_write2_b64 v57, v[30:31], v[32:33] offset0:64 offset1:208
	v_add_u32_e32 v4, 0x3c00, v1
	s_waitcnt vmcnt(8)
	ds_write2_b64 v1, v[38:39], v[42:43] offset1:144
	ds_write2_b64 v4, v[34:35], v[36:37] offset0:96 offset1:240
	v_add_u32_e32 v4, 0x4800, v1
	v_add_u32_e32 v5, 0x5000, v1
	v_add_u32_e32 v10, 0x120, v0
	v_add_u32_e32 v9, 0x1b0, v0
	s_waitcnt vmcnt(5)
	ds_write2_b64 v4, v[46:47], v[48:49] offset1:144
	v_add_u32_e32 v4, 0x90, v0
	s_waitcnt vmcnt(4)
	ds_write2_b64 v5, v[50:51], v[44:45] offset0:32 offset1:176
	v_add_u32_e32 v5, 0x5800, v1
	v_add_u32_e32 v6, 0x240, v0
	;; [unrolled: 1-line block ×4, first 2 shown]
	s_waitcnt vmcnt(2)
	ds_write2_b64 v5, v[28:29], v[52:53] offset0:64 offset1:208
	s_waitcnt vmcnt(0)
	ds_write2_b64 v1, v[18:19], v[54:55] offset0:96 offset1:240
.LBB0_13:
	s_or_b64 exec, exec, s[4:5]
	v_lshlrev_b32_e32 v1, 3, v0
	v_add_u32_e32 v16, 0, v1
	v_add_u32_e32 v13, 0x3400, v16
	s_waitcnt lgkmcnt(0)
	s_barrier
	ds_read2_b64 v[23:26], v13 offset0:64 offset1:208
	v_add_u32_e32 v5, 0x5800, v16
	v_add_u32_e32 v7, 0x1000, v16
	ds_read2_b64 v[27:30], v5 offset0:64 offset1:208
	ds_read2_b64 v[31:34], v7 offset0:64 offset1:208
	v_add_u32_e32 v20, 0x2400, v16
	v_add_u32_e32 v15, 0x4800, v16
	ds_read2_b64 v[35:38], v16 offset1:144
	ds_read2_b64 v[39:42], v20 offset1:144
	;; [unrolled: 1-line block ×3, first 2 shown]
	s_waitcnt lgkmcnt(4)
	v_add_f32_e32 v12, v24, v28
	v_add_f32_e32 v7, v23, v27
	s_waitcnt lgkmcnt(3)
	v_fma_f32 v72, -0.5, v12, v32
	v_fma_f32 v7, -0.5, v7, v31
	v_sub_f32_e32 v73, v23, v27
	v_mov_b32_e32 v12, v72
	v_sub_f32_e32 v71, v24, v28
	v_mov_b32_e32 v11, v7
	v_fmac_f32_e32 v12, 0xbf5db3d7, v73
	v_fmac_f32_e32 v11, 0x3f5db3d7, v71
	v_mul_f32_e32 v74, 0x3f5db3d7, v12
	v_fmac_f32_e32 v74, 0.5, v11
	v_mul_f32_e32 v75, 0xbf5db3d7, v11
	s_waitcnt lgkmcnt(1)
	v_add_f32_e32 v11, v35, v39
	s_waitcnt lgkmcnt(0)
	v_add_f32_e32 v76, v11, v43
	v_add_f32_e32 v11, v39, v43
	v_fma_f32 v35, -0.5, v11, v35
	v_add_f32_e32 v11, v36, v40
	v_add_f32_e32 v79, v11, v44
	;; [unrolled: 1-line block ×3, first 2 shown]
	v_fma_f32 v36, -0.5, v11, v36
	v_add_f32_e32 v11, v31, v23
	v_add_f32_e32 v23, v11, v27
	;; [unrolled: 1-line block ×3, first 2 shown]
	v_sub_f32_e32 v77, v40, v44
	v_mov_b32_e32 v78, v35
	v_sub_f32_e32 v39, v39, v43
	v_mov_b32_e32 v40, v36
	v_add_f32_e32 v27, v11, v28
	v_add_u32_e32 v28, 0x800, v16
	v_fmac_f32_e32 v75, 0.5, v12
	v_fmac_f32_e32 v78, 0x3f5db3d7, v77
	v_fmac_f32_e32 v40, 0xbf5db3d7, v39
	v_add_u32_e32 v24, 0x1800, v16
	v_add_u32_e32 v21, 0x2c00, v16
	;; [unrolled: 1-line block ×5, first 2 shown]
	ds_read2_b64 v[47:50], v28 offset0:32 offset1:176
	ds_read2_b64 v[51:54], v24 offset0:96 offset1:240
	;; [unrolled: 1-line block ×6, first 2 shown]
	v_mul_u32_u24_e32 v28, 6, v0
	v_add_f32_e32 v11, v76, v23
	v_add_f32_e32 v12, v79, v27
	;; [unrolled: 1-line block ×4, first 2 shown]
	v_lshl_add_u32 v28, v28, 3, 0
	v_fmac_f32_e32 v7, 0xbf5db3d7, v71
	v_fmac_f32_e32 v72, 0x3f5db3d7, v73
	s_waitcnt lgkmcnt(0)
	s_barrier
	ds_write2_b64 v28, v[11:12], v[17:18] offset1:1
	v_sub_f32_e32 v11, v76, v23
	v_sub_f32_e32 v12, v79, v27
	v_mul_f32_e32 v23, -0.5, v7
	v_mul_f32_e32 v27, -0.5, v72
	v_fmac_f32_e32 v35, 0xbf5db3d7, v77
	v_fmac_f32_e32 v36, 0x3f5db3d7, v39
	;; [unrolled: 1-line block ×4, first 2 shown]
	v_add_f32_e32 v17, v35, v23
	v_add_f32_e32 v18, v36, v27
	ds_write2_b64 v28, v[17:18], v[11:12] offset0:2 offset1:3
	v_sub_f32_e32 v11, v78, v74
	v_sub_f32_e32 v12, v40, v75
	;; [unrolled: 1-line block ×4, first 2 shown]
	v_add_f32_e32 v7, v37, v41
	ds_write2_b64 v28, v[11:12], v[17:18] offset0:4 offset1:5
	v_add_f32_e32 v12, v38, v42
	v_add_f32_e32 v28, v7, v45
	;; [unrolled: 1-line block ×5, first 2 shown]
	v_sub_f32_e32 v32, v26, v30
	v_add_f32_e32 v18, v34, v26
	v_add_f32_e32 v26, v26, v30
	v_sub_f32_e32 v25, v25, v29
	v_add_f32_e32 v29, v7, v29
	v_add_f32_e32 v7, v47, v55
	;; [unrolled: 1-line block ×3, first 2 shown]
	v_sub_f32_e32 v40, v55, v63
	v_add_f32_e32 v55, v7, v63
	v_add_f32_e32 v7, v51, v59
	v_fmac_f32_e32 v34, -0.5, v26
	v_fma_f32 v26, -0.5, v12, v33
	v_add_f32_e32 v11, v41, v45
	v_sub_f32_e32 v23, v42, v46
	v_add_f32_e32 v17, v42, v46
	v_sub_f32_e32 v27, v41, v45
	v_add_f32_e32 v41, v49, v57
	v_add_f32_e32 v42, v57, v65
	;; [unrolled: 1-line block ×3, first 2 shown]
	v_sub_f32_e32 v46, v57, v65
	v_add_f32_e32 v57, v59, v67
	v_sub_f32_e32 v59, v59, v67
	v_add_f32_e32 v67, v7, v67
	v_mov_b32_e32 v7, v26
	v_mov_b32_e32 v12, v34
	v_add_f32_e32 v30, v18, v30
	v_add_f32_e32 v18, v48, v56
	v_sub_f32_e32 v43, v58, v66
	v_add_f32_e32 v45, v58, v66
	v_add_f32_e32 v44, v44, v66
	;; [unrolled: 1-line block ×4, first 2 shown]
	v_fmac_f32_e32 v38, -0.5, v17
	v_fmac_f32_e32 v7, 0x3f5db3d7, v32
	v_fmac_f32_e32 v12, 0xbf5db3d7, v25
	v_fma_f32 v37, -0.5, v11, v37
	v_sub_f32_e32 v36, v56, v64
	v_add_f32_e32 v39, v56, v64
	v_add_f32_e32 v56, v18, v64
	;; [unrolled: 1-line block ×4, first 2 shown]
	v_sub_f32_e32 v65, v62, v70
	v_add_f32_e32 v62, v62, v70
	v_sub_f32_e32 v61, v61, v69
	v_add_f32_e32 v63, v63, v69
	v_add_f32_e32 v66, v66, v70
	v_mul_f32_e32 v33, 0x3f5db3d7, v12
	v_mul_f32_e32 v69, 0xbf5db3d7, v7
	v_mov_b32_e32 v70, v37
	v_mov_b32_e32 v71, v38
	v_fmac_f32_e32 v26, 0xbf5db3d7, v32
	v_fmac_f32_e32 v34, 0x3f5db3d7, v25
	v_add_f32_e32 v18, v52, v60
	v_fmac_f32_e32 v33, 0.5, v7
	v_fmac_f32_e32 v69, 0.5, v12
	v_fmac_f32_e32 v70, 0x3f5db3d7, v23
	v_fmac_f32_e32 v71, 0xbf5db3d7, v27
	v_mul_i32_i24_e32 v7, 6, v4
	v_mul_f32_e32 v25, -0.5, v26
	v_mul_f32_e32 v32, -0.5, v34
	v_sub_f32_e32 v58, v60, v68
	v_add_f32_e32 v60, v60, v68
	v_add_f32_e32 v68, v18, v68
	;; [unrolled: 1-line block ×6, first 2 shown]
	v_lshl_add_u32 v7, v7, 3, 0
	v_fmac_f32_e32 v25, 0x3f5db3d7, v34
	v_fmac_f32_e32 v37, 0xbf5db3d7, v23
	;; [unrolled: 1-line block ×4, first 2 shown]
	ds_write2_b64 v7, v[11:12], v[17:18] offset1:1
	v_sub_f32_e32 v11, v28, v29
	v_sub_f32_e32 v12, v31, v30
	v_add_f32_e32 v17, v37, v25
	v_add_f32_e32 v18, v38, v32
	ds_write2_b64 v7, v[17:18], v[11:12] offset0:2 offset1:3
	v_sub_f32_e32 v12, v38, v32
	v_sub_f32_e32 v11, v37, v25
	;; [unrolled: 1-line block ×4, first 2 shown]
	ds_write2_b64 v7, v[17:18], v[11:12] offset0:4 offset1:5
	v_fma_f32 v18, -0.5, v57, v51
	v_fma_f32 v23, -0.5, v60, v52
	v_mov_b32_e32 v11, v18
	v_mov_b32_e32 v12, v23
	v_fmac_f32_e32 v11, 0x3f5db3d7, v58
	v_fmac_f32_e32 v12, 0xbf5db3d7, v59
	v_fma_f32 v29, -0.5, v35, v47
	v_fma_f32 v31, -0.5, v39, v48
	v_fmac_f32_e32 v18, 0xbf5db3d7, v58
	v_mul_f32_e32 v27, 0x3f5db3d7, v12
	v_mul_f32_e32 v28, 0xbf5db3d7, v11
	v_mov_b32_e32 v30, v29
	v_mov_b32_e32 v32, v31
	v_fmac_f32_e32 v23, 0x3f5db3d7, v59
	v_mul_f32_e32 v33, -0.5, v18
	v_fmac_f32_e32 v27, 0.5, v11
	v_fmac_f32_e32 v28, 0.5, v12
	v_fmac_f32_e32 v30, 0x3f5db3d7, v36
	v_fmac_f32_e32 v32, 0xbf5db3d7, v40
	v_mul_i32_i24_e32 v17, 6, v10
	v_fmac_f32_e32 v33, 0x3f5db3d7, v23
	v_mul_f32_e32 v23, -0.5, v23
	v_add_f32_e32 v11, v55, v67
	v_add_f32_e32 v12, v56, v68
	;; [unrolled: 1-line block ×4, first 2 shown]
	v_lshl_add_u32 v17, v17, 3, 0
	v_fmac_f32_e32 v29, 0xbf5db3d7, v36
	v_fmac_f32_e32 v31, 0x3f5db3d7, v40
	;; [unrolled: 1-line block ×3, first 2 shown]
	ds_write2_b64 v17, v[11:12], v[25:26] offset1:1
	v_sub_f32_e32 v11, v55, v67
	v_sub_f32_e32 v12, v56, v68
	v_add_f32_e32 v25, v29, v33
	v_add_f32_e32 v26, v31, v23
	ds_write2_b64 v17, v[25:26], v[11:12] offset0:2 offset1:3
	v_sub_f32_e32 v11, v30, v27
	v_sub_f32_e32 v12, v32, v28
	;; [unrolled: 1-line block ×4, first 2 shown]
	v_fmac_f32_e32 v54, -0.5, v62
	v_fma_f32 v23, -0.5, v64, v53
	ds_write2_b64 v17, v[11:12], v[25:26] offset0:4 offset1:5
	v_mov_b32_e32 v11, v23
	v_mov_b32_e32 v12, v54
	v_fmac_f32_e32 v50, -0.5, v45
	v_fmac_f32_e32 v11, 0x3f5db3d7, v65
	v_fmac_f32_e32 v12, 0xbf5db3d7, v61
	v_fma_f32 v29, -0.5, v42, v49
	v_mul_f32_e32 v27, 0x3f5db3d7, v12
	v_mul_f32_e32 v28, 0xbf5db3d7, v11
	v_mov_b32_e32 v30, v29
	v_mov_b32_e32 v31, v50
	v_fmac_f32_e32 v23, 0xbf5db3d7, v65
	v_fmac_f32_e32 v54, 0x3f5db3d7, v61
	v_fmac_f32_e32 v27, 0.5, v11
	v_fmac_f32_e32 v28, 0.5, v12
	v_fmac_f32_e32 v30, 0x3f5db3d7, v43
	v_fmac_f32_e32 v31, 0xbf5db3d7, v46
	v_mul_i32_i24_e32 v18, 6, v9
	v_mul_f32_e32 v32, -0.5, v23
	v_mul_f32_e32 v33, -0.5, v54
	v_add_f32_e32 v11, v41, v63
	v_add_f32_e32 v12, v44, v66
	;; [unrolled: 1-line block ×4, first 2 shown]
	v_lshl_add_u32 v18, v18, 3, 0
	v_fmac_f32_e32 v32, 0x3f5db3d7, v54
	v_fmac_f32_e32 v29, 0xbf5db3d7, v43
	;; [unrolled: 1-line block ×4, first 2 shown]
	ds_write2_b64 v18, v[11:12], v[25:26] offset1:1
	v_sub_f32_e32 v11, v41, v63
	v_sub_f32_e32 v12, v44, v66
	v_add_f32_e32 v25, v29, v32
	v_add_f32_e32 v26, v50, v33
	ds_write2_b64 v18, v[25:26], v[11:12] offset0:2 offset1:3
	v_sub_f32_e32 v12, v50, v33
	v_sub_f32_e32 v11, v29, v32
	;; [unrolled: 1-line block ×4, first 2 shown]
	s_mov_b32 s4, 0xaaab
	ds_write2_b64 v18, v[25:26], v[11:12] offset0:4 offset1:5
	v_mul_u32_u24_sdwa v11, v4, s4 dst_sel:DWORD dst_unused:UNUSED_PAD src0_sel:WORD_0 src1_sel:DWORD
	v_lshrrev_b32_e32 v38, 18, v11
	v_mul_lo_u16_e32 v11, 6, v38
	v_sub_u16_e32 v39, v4, v11
	v_mul_u32_u24_e32 v11, 5, v39
	v_lshlrev_b32_e32 v23, 3, v11
	v_mul_u32_u24_sdwa v11, v10, s4 dst_sel:DWORD dst_unused:UNUSED_PAD src0_sel:WORD_0 src1_sel:DWORD
	v_lshrrev_b32_e32 v36, 18, v11
	s_waitcnt lgkmcnt(0)
	s_barrier
	global_load_dwordx4 v[29:32], v23, s[8:9]
	v_mul_lo_u16_e32 v11, 6, v36
	v_sub_u16_e32 v37, v10, v11
	v_mul_u32_u24_e32 v11, 5, v37
	v_lshlrev_b32_e32 v25, 3, v11
	global_load_dwordx4 v[47:50], v25, s[8:9]
	global_load_dwordx4 v[51:54], v23, s[8:9] offset:16
	global_load_dwordx4 v[55:58], v25, s[8:9] offset:16
	s_movk_i32 s5, 0xab
	v_mul_lo_u16_sdwa v11, v0, s5 dst_sel:DWORD dst_unused:UNUSED_PAD src0_sel:BYTE_0 src1_sel:DWORD
	v_lshrrev_b16_e32 v26, 10, v11
	v_mul_lo_u16_e32 v11, 6, v26
	v_sub_u16_e32 v27, v0, v11
	v_mov_b32_e32 v11, 5
	v_mul_u32_u24_sdwa v12, v27, v11 dst_sel:DWORD dst_unused:UNUSED_PAD src0_sel:BYTE_0 src1_sel:DWORD
	v_lshlrev_b32_e32 v33, 3, v12
	global_load_dwordx4 v[59:62], v33, s[8:9]
	v_mul_u32_u24_sdwa v12, v9, s4 dst_sel:DWORD dst_unused:UNUSED_PAD src0_sel:WORD_0 src1_sel:DWORD
	v_lshrrev_b32_e32 v40, 18, v12
	v_mul_lo_u16_e32 v12, 6, v40
	v_sub_u16_e32 v41, v9, v12
	v_mul_u32_u24_e32 v12, 5, v41
	v_lshlrev_b32_e32 v35, 3, v12
	global_load_dwordx4 v[63:66], v35, s[8:9]
	global_load_dwordx4 v[67:70], v33, s[8:9] offset:16
	v_add_u32_e32 v28, 0x1400, v16
	v_add_u32_e32 v12, 0x2800, v16
	ds_read2_b64 v[71:74], v28 offset0:80 offset1:224
	ds_read2_b64 v[75:78], v12 offset0:16 offset1:160
	global_load_dwordx4 v[79:82], v35, s[8:9] offset:16
	global_load_dwordx2 v[83:84], v33, s[8:9] offset:32
	global_load_dwordx2 v[85:86], v23, s[8:9] offset:32
	global_load_dwordx2 v[87:88], v25, s[8:9] offset:32
	v_add_u32_e32 v34, 0x1e00, v16
	s_movk_i32 s4, 0xffd8
	v_mad_i32_i24 v25, v4, s4, v7
	v_mul_u32_u24_e32 v26, 0x120, v26
	v_mul_u32_u24_e32 v38, 0x120, v38
	v_lshlrev_b32_e32 v39, 3, v39
	v_mul_u32_u24_e32 v36, 0x120, v36
	v_lshlrev_b32_e32 v37, 3, v37
	s_add_u32 s6, s8, 0x6bd0
	s_addc_u32 s7, s9, 0
	s_waitcnt vmcnt(10) lgkmcnt(1)
	v_mul_f32_e32 v33, v72, v30
	v_mul_f32_e32 v46, v71, v30
	v_fma_f32 v45, v71, v29, -v33
	v_fmac_f32_e32 v46, v72, v29
	s_waitcnt lgkmcnt(0)
	v_mul_f32_e32 v29, v76, v32
	v_fma_f32 v89, v75, v31, -v29
	s_waitcnt vmcnt(9)
	v_mul_f32_e32 v29, v74, v48
	v_fma_f32 v42, v73, v47, -v29
	v_mul_f32_e32 v43, v73, v48
	v_add_u32_e32 v29, 0x3800, v16
	v_mul_f32_e32 v90, v75, v32
	v_fmac_f32_e32 v43, v74, v47
	v_mul_f32_e32 v23, v78, v50
	ds_read2_b64 v[71:74], v29 offset0:80 offset1:224
	v_mul_f32_e32 v48, v77, v50
	v_add_u32_e32 v32, 0x4c00, v16
	v_fmac_f32_e32 v90, v76, v31
	v_fma_f32 v44, v77, v49, -v23
	v_fmac_f32_e32 v48, v78, v49
	ds_read2_b64 v[75:78], v32 offset0:16 offset1:160
	s_waitcnt vmcnt(8) lgkmcnt(1)
	v_mul_f32_e32 v23, v72, v52
	v_fma_f32 v91, v71, v51, -v23
	v_mul_f32_e32 v92, v71, v52
	v_fmac_f32_e32 v92, v72, v51
	s_waitcnt lgkmcnt(0)
	v_mul_f32_e32 v23, v76, v54
	v_fma_f32 v93, v75, v53, -v23
	s_waitcnt vmcnt(7)
	v_mul_f32_e32 v23, v74, v56
	v_mul_f32_e32 v75, v75, v54
	v_fma_f32 v47, v73, v55, -v23
	v_mul_f32_e32 v23, v78, v58
	v_fmac_f32_e32 v75, v76, v53
	v_fma_f32 v76, v77, v57, -v23
	v_mul_f32_e32 v77, v77, v58
	v_mul_f32_e32 v49, v73, v56
	v_lshl_add_u32 v23, v6, 3, 0
	v_fmac_f32_e32 v77, v78, v57
	ds_read2_b64 v[50:53], v34 offset0:48 offset1:192
	ds_read_b64 v[56:57], v16
	ds_read_b64 v[30:31], v23
	v_fmac_f32_e32 v49, v74, v55
	ds_read_b64 v[71:72], v25
	ds_read_b64 v[73:74], v16 offset:26496
	s_waitcnt vmcnt(6) lgkmcnt(2)
	v_mul_f32_e32 v33, v60, v31
	v_mul_f32_e32 v94, v60, v30
	v_fma_f32 v78, v59, v30, -v33
	v_fmac_f32_e32 v94, v59, v31
	global_load_dwordx2 v[58:59], v35, s[8:9] offset:32
	v_mul_f32_e32 v30, v62, v53
	v_mul_f32_e32 v60, v62, v52
	v_add_u32_e32 v31, 0x3000, v16
	v_fma_f32 v33, v61, v52, -v30
	v_fmac_f32_e32 v60, v61, v53
	ds_read2_b64 v[52:55], v31 offset0:48 offset1:192
	s_waitcnt vmcnt(6)
	v_mul_f32_e32 v30, v51, v64
	v_fma_f32 v62, v50, v63, -v30
	v_mul_f32_e32 v64, v50, v64
	v_fmac_f32_e32 v64, v51, v63
	s_waitcnt lgkmcnt(0)
	v_mul_f32_e32 v30, v53, v66
	v_fma_f32 v63, v52, v65, -v30
	v_mul_f32_e32 v66, v52, v66
	v_add_u32_e32 v30, 0x4200, v16
	v_fmac_f32_e32 v66, v53, v65
	ds_read2_b64 v[50:53], v30 offset0:48 offset1:192
	s_waitcnt vmcnt(5)
	v_mul_f32_e32 v30, v55, v68
	v_fma_f32 v61, v54, v67, -v30
	v_mul_f32_e32 v65, v54, v68
	v_fmac_f32_e32 v65, v55, v67
	s_waitcnt lgkmcnt(0)
	v_mul_f32_e32 v30, v53, v70
	v_fma_f32 v67, v52, v69, -v30
	v_mul_f32_e32 v68, v52, v70
	v_add_u32_e32 v30, 0x5400, v16
	;; [unrolled: 12-line block ×3, first 2 shown]
	v_fmac_f32_e32 v80, v53, v81
	ds_read2_b64 v[50:53], v35 offset0:80 offset1:224
	s_waitcnt vmcnt(3)
	v_mul_f32_e32 v81, v55, v84
	v_fma_f32 v81, v54, v83, -v81
	v_mul_f32_e32 v54, v54, v84
	v_fmac_f32_e32 v54, v55, v83
	s_waitcnt vmcnt(2) lgkmcnt(0)
	v_mul_f32_e32 v55, v51, v86
	v_fma_f32 v82, v50, v85, -v55
	v_mul_f32_e32 v83, v50, v86
	s_waitcnt vmcnt(1)
	v_mul_f32_e32 v50, v53, v88
	v_fma_f32 v84, v52, v87, -v50
	v_add_f32_e32 v50, v57, v60
	v_add_f32_e32 v86, v50, v68
	;; [unrolled: 1-line block ×3, first 2 shown]
	v_fmac_f32_e32 v83, v51, v85
	v_mul_f32_e32 v85, v52, v88
	v_fmac_f32_e32 v57, -0.5, v50
	v_add_f32_e32 v50, v56, v33
	v_add_f32_e32 v51, v61, v81
	v_fmac_f32_e32 v85, v53, v87
	v_sub_f32_e32 v87, v60, v68
	v_add_f32_e32 v68, v50, v67
	v_add_f32_e32 v50, v33, v67
	v_sub_f32_e32 v67, v33, v67
	v_add_f32_e32 v33, v78, v61
	v_fmac_f32_e32 v78, -0.5, v51
	v_add_f32_e32 v51, v94, v65
	v_add_f32_e32 v88, v51, v54
	;; [unrolled: 1-line block ×3, first 2 shown]
	v_fmac_f32_e32 v94, -0.5, v51
	v_sub_f32_e32 v95, v65, v54
	v_add_f32_e32 v65, v33, v81
	v_sub_f32_e32 v81, v61, v81
	v_mov_b32_e32 v51, v94
	v_mov_b32_e32 v33, v78
	v_fmac_f32_e32 v51, 0xbf5db3d7, v81
	v_fmac_f32_e32 v33, 0x3f5db3d7, v95
	v_mul_f32_e32 v96, 0x3f5db3d7, v51
	v_fma_f32 v56, -0.5, v50, v56
	v_fmac_f32_e32 v96, 0.5, v33
	v_mul_f32_e32 v97, 0xbf5db3d7, v33
	v_mov_b32_e32 v33, 3
	v_mov_b32_e32 v99, v56
	;; [unrolled: 1-line block ×3, first 2 shown]
	v_fmac_f32_e32 v97, 0.5, v51
	v_lshlrev_b32_sdwa v27, v33, v27 dst_sel:DWORD dst_unused:UNUSED_PAD src0_sel:DWORD src1_sel:BYTE_0
	v_fmac_f32_e32 v99, 0x3f5db3d7, v87
	v_fmac_f32_e32 v100, 0xbf5db3d7, v67
	v_add3_u32 v98, 0, v26, v27
	v_add_f32_e32 v50, v68, v65
	v_add_f32_e32 v51, v86, v88
	;; [unrolled: 1-line block ×4, first 2 shown]
	v_mad_i32_i24 v27, v10, s4, v17
	v_fmac_f32_e32 v78, 0xbf5db3d7, v95
	v_fmac_f32_e32 v94, 0x3f5db3d7, v81
	v_mad_i32_i24 v26, v9, s4, v18
	ds_read_b64 v[54:55], v27
	ds_read_b64 v[60:61], v26
	s_waitcnt vmcnt(0) lgkmcnt(0)
	s_barrier
	ds_write2_b64 v98, v[50:51], v[52:53] offset1:6
	v_sub_f32_e32 v50, v68, v65
	v_fmac_f32_e32 v57, 0x3f5db3d7, v67
	v_mul_f32_e32 v65, -0.5, v78
	v_mul_f32_e32 v67, -0.5, v94
	v_fmac_f32_e32 v56, 0xbf5db3d7, v87
	v_fmac_f32_e32 v65, 0x3f5db3d7, v94
	;; [unrolled: 1-line block ×3, first 2 shown]
	v_sub_f32_e32 v51, v86, v88
	v_add_f32_e32 v52, v56, v65
	v_add_f32_e32 v53, v57, v67
	ds_write2_b64 v98, v[52:53], v[50:51] offset0:12 offset1:18
	v_sub_f32_e32 v51, v57, v67
	v_sub_f32_e32 v50, v56, v65
	;; [unrolled: 1-line block ×4, first 2 shown]
	ds_write2_b64 v98, v[52:53], v[50:51] offset0:24 offset1:30
	v_add_f32_e32 v50, v72, v90
	v_add_f32_e32 v52, v50, v75
	v_add_f32_e32 v50, v90, v75
	v_add_f32_e32 v65, v91, v82
	v_add_f32_e32 v68, v92, v83
	v_fmac_f32_e32 v72, -0.5, v50
	v_add_f32_e32 v50, v71, v89
	v_add_f32_e32 v51, v45, v91
	v_fmac_f32_e32 v45, -0.5, v65
	v_add_f32_e32 v65, v46, v92
	v_fmac_f32_e32 v46, -0.5, v68
	v_sub_f32_e32 v53, v90, v75
	v_add_f32_e32 v56, v50, v93
	v_add_f32_e32 v50, v89, v93
	v_sub_f32_e32 v67, v92, v83
	v_add_f32_e32 v68, v51, v82
	v_sub_f32_e32 v75, v91, v82
	v_mov_b32_e32 v51, v45
	v_mov_b32_e32 v78, v46
	v_fmac_f32_e32 v51, 0x3f5db3d7, v67
	v_fmac_f32_e32 v78, 0xbf5db3d7, v75
	v_fma_f32 v71, -0.5, v50, v71
	v_sub_f32_e32 v57, v89, v93
	v_add_f32_e32 v65, v65, v83
	v_mul_f32_e32 v81, 0x3f5db3d7, v78
	v_mul_f32_e32 v82, 0xbf5db3d7, v51
	v_mov_b32_e32 v83, v71
	v_mov_b32_e32 v86, v72
	v_fmac_f32_e32 v81, 0.5, v51
	v_fmac_f32_e32 v82, 0.5, v78
	v_fmac_f32_e32 v83, 0x3f5db3d7, v53
	v_fmac_f32_e32 v86, 0xbf5db3d7, v57
	v_add3_u32 v78, 0, v38, v39
	v_add_f32_e32 v38, v56, v68
	v_add_f32_e32 v39, v52, v65
	;; [unrolled: 1-line block ×4, first 2 shown]
	v_fmac_f32_e32 v45, 0xbf5db3d7, v67
	v_fmac_f32_e32 v46, 0x3f5db3d7, v75
	ds_write2_b64 v78, v[38:39], v[50:51] offset1:6
	v_mul_f32_e32 v50, -0.5, v45
	v_mul_f32_e32 v51, -0.5, v46
	v_fmac_f32_e32 v71, 0xbf5db3d7, v53
	v_fmac_f32_e32 v72, 0x3f5db3d7, v57
	;; [unrolled: 1-line block ×4, first 2 shown]
	v_sub_f32_e32 v38, v56, v68
	v_sub_f32_e32 v39, v52, v65
	v_add_f32_e32 v45, v71, v50
	v_add_f32_e32 v46, v72, v51
	ds_write2_b64 v78, v[45:46], v[38:39] offset0:12 offset1:18
	v_sub_f32_e32 v39, v72, v51
	v_sub_f32_e32 v38, v71, v50
	;; [unrolled: 1-line block ×4, first 2 shown]
	ds_write2_b64 v78, v[45:46], v[38:39] offset0:24 offset1:30
	v_add_f32_e32 v38, v55, v48
	v_add_f32_e32 v50, v47, v84
	;; [unrolled: 1-line block ×5, first 2 shown]
	v_fmac_f32_e32 v42, -0.5, v50
	v_add_f32_e32 v50, v43, v49
	v_sub_f32_e32 v51, v49, v85
	v_add_f32_e32 v49, v49, v85
	v_fmac_f32_e32 v55, -0.5, v38
	v_add_f32_e32 v38, v54, v44
	v_fmac_f32_e32 v43, -0.5, v49
	v_sub_f32_e32 v46, v48, v77
	v_add_f32_e32 v48, v38, v76
	v_add_f32_e32 v38, v44, v76
	;; [unrolled: 1-line block ×3, first 2 shown]
	v_sub_f32_e32 v47, v47, v84
	v_mov_b32_e32 v39, v42
	v_mov_b32_e32 v52, v43
	v_sub_f32_e32 v44, v44, v76
	v_fmac_f32_e32 v39, 0x3f5db3d7, v51
	v_fmac_f32_e32 v52, 0xbf5db3d7, v47
	v_fma_f32 v54, -0.5, v38, v54
	v_mov_b32_e32 v65, v55
	v_fmac_f32_e32 v42, 0xbf5db3d7, v51
	v_mul_f32_e32 v53, 0x3f5db3d7, v52
	v_mul_f32_e32 v56, 0xbf5db3d7, v39
	v_mov_b32_e32 v57, v54
	v_fmac_f32_e32 v65, 0xbf5db3d7, v44
	v_fmac_f32_e32 v55, 0x3f5db3d7, v44
	;; [unrolled: 1-line block ×3, first 2 shown]
	v_mul_f32_e32 v44, -0.5, v42
	v_add_f32_e32 v50, v50, v85
	v_fmac_f32_e32 v53, 0.5, v39
	v_fmac_f32_e32 v56, 0.5, v52
	v_fmac_f32_e32 v57, 0x3f5db3d7, v46
	v_fmac_f32_e32 v44, 0x3f5db3d7, v43
	v_mul_f32_e32 v43, -0.5, v43
	v_add3_u32 v52, 0, v36, v37
	v_add_f32_e32 v36, v48, v49
	v_add_f32_e32 v37, v45, v50
	;; [unrolled: 1-line block ×4, first 2 shown]
	v_fmac_f32_e32 v54, 0xbf5db3d7, v46
	v_fmac_f32_e32 v43, 0xbf5db3d7, v42
	ds_write2_b64 v52, v[36:37], v[38:39] offset1:6
	v_sub_f32_e32 v36, v48, v49
	v_sub_f32_e32 v37, v45, v50
	v_add_f32_e32 v38, v54, v44
	v_add_f32_e32 v39, v55, v43
	ds_write2_b64 v52, v[38:39], v[36:37] offset0:12 offset1:18
	v_sub_f32_e32 v37, v55, v43
	v_sub_f32_e32 v36, v54, v44
	v_sub_f32_e32 v38, v57, v53
	v_sub_f32_e32 v39, v65, v56
	ds_write2_b64 v52, v[38:39], v[36:37] offset0:24 offset1:30
	v_mul_f32_e32 v36, v74, v59
	v_fma_f32 v36, v73, v58, -v36
	v_mul_f32_e32 v37, v73, v59
	v_add_f32_e32 v46, v69, v36
	v_fmac_f32_e32 v37, v74, v58
	v_add_f32_e32 v39, v62, v69
	v_fmac_f32_e32 v62, -0.5, v46
	v_add_f32_e32 v46, v64, v70
	v_add_f32_e32 v38, v61, v66
	;; [unrolled: 1-line block ×3, first 2 shown]
	v_sub_f32_e32 v47, v70, v37
	v_add_f32_e32 v37, v70, v37
	v_add_f32_e32 v42, v38, v80
	;; [unrolled: 1-line block ×3, first 2 shown]
	v_fmac_f32_e32 v64, -0.5, v37
	v_add_f32_e32 v48, v39, v36
	v_sub_f32_e32 v49, v69, v36
	v_mov_b32_e32 v36, v62
	v_fmac_f32_e32 v61, -0.5, v38
	v_add_f32_e32 v38, v60, v63
	v_fmac_f32_e32 v36, 0x3f5db3d7, v47
	v_mov_b32_e32 v37, v64
	v_add_f32_e32 v44, v38, v79
	v_add_f32_e32 v38, v63, v79
	v_fmac_f32_e32 v37, 0xbf5db3d7, v49
	v_mul_f32_e32 v51, 0xbf5db3d7, v36
	v_mul_f32_e32 v50, 0x3f5db3d7, v37
	v_fmac_f32_e32 v51, 0.5, v37
	v_lshlrev_b32_e32 v37, 3, v41
	v_fma_f32 v41, -0.5, v38, v60
	v_sub_f32_e32 v43, v66, v80
	v_sub_f32_e32 v45, v63, v79
	v_mov_b32_e32 v52, v41
	v_mov_b32_e32 v53, v61
	v_fmac_f32_e32 v50, 0.5, v36
	v_mul_u32_u24_e32 v36, 0x120, v40
	v_fmac_f32_e32 v52, 0x3f5db3d7, v43
	v_fmac_f32_e32 v53, 0xbf5db3d7, v45
	v_add3_u32 v40, 0, v36, v37
	v_add_f32_e32 v36, v44, v48
	v_add_f32_e32 v37, v42, v46
	;; [unrolled: 1-line block ×4, first 2 shown]
	v_fmac_f32_e32 v62, 0xbf5db3d7, v47
	v_fmac_f32_e32 v64, 0x3f5db3d7, v49
	ds_write2_b64 v40, v[36:37], v[38:39] offset1:6
	v_sub_f32_e32 v37, v42, v46
	v_fmac_f32_e32 v41, 0xbf5db3d7, v43
	v_mul_f32_e32 v42, -0.5, v62
	v_mul_f32_e32 v43, -0.5, v64
	v_fmac_f32_e32 v61, 0x3f5db3d7, v45
	v_fmac_f32_e32 v42, 0x3f5db3d7, v64
	;; [unrolled: 1-line block ×3, first 2 shown]
	v_sub_f32_e32 v36, v44, v48
	v_add_f32_e32 v38, v41, v42
	v_add_f32_e32 v39, v61, v43
	ds_write2_b64 v40, v[38:39], v[36:37] offset0:12 offset1:18
	v_sub_f32_e32 v37, v61, v43
	v_sub_f32_e32 v36, v41, v42
	;; [unrolled: 1-line block ×4, first 2 shown]
	s_mov_b32 s4, 0xe38f
	ds_write2_b64 v40, v[38:39], v[36:37] offset0:24 offset1:30
	v_mul_u32_u24_sdwa v36, v4, s4 dst_sel:DWORD dst_unused:UNUSED_PAD src0_sel:WORD_0 src1_sel:DWORD
	v_lshrrev_b32_e32 v39, 21, v36
	v_mul_lo_u16_e32 v36, 36, v39
	v_sub_u16_e32 v40, v4, v36
	v_mul_u32_u24_e32 v36, 5, v40
	v_lshlrev_b32_e32 v41, 3, v36
	v_mul_u32_u24_sdwa v36, v10, s4 dst_sel:DWORD dst_unused:UNUSED_PAD src0_sel:WORD_0 src1_sel:DWORD
	v_lshrrev_b32_e32 v36, 21, v36
	s_waitcnt lgkmcnt(0)
	s_barrier
	global_load_dwordx4 v[44:47], v41, s[8:9] offset:240
	v_mul_lo_u16_e32 v37, 36, v36
	v_sub_u16_e32 v37, v10, v37
	v_mul_u32_u24_e32 v38, 5, v37
	v_lshlrev_b32_e32 v42, 3, v38
	global_load_dwordx4 v[48:51], v42, s[8:9] offset:240
	global_load_dwordx4 v[52:55], v41, s[8:9] offset:256
	;; [unrolled: 1-line block ×3, first 2 shown]
	v_mov_b32_e32 v38, 57
	v_mul_lo_u16_sdwa v38, v0, v38 dst_sel:DWORD dst_unused:UNUSED_PAD src0_sel:BYTE_0 src1_sel:DWORD
	v_lshrrev_b16_e32 v90, 11, v38
	v_mul_lo_u16_e32 v38, 36, v90
	v_sub_u16_e32 v91, v0, v38
	v_mul_u32_u24_sdwa v11, v91, v11 dst_sel:DWORD dst_unused:UNUSED_PAD src0_sel:BYTE_0 src1_sel:DWORD
	v_lshlrev_b32_e32 v43, 3, v11
	global_load_dwordx4 v[60:63], v43, s[8:9] offset:240
	v_mul_u32_u24_sdwa v11, v9, s4 dst_sel:DWORD dst_unused:UNUSED_PAD src0_sel:WORD_0 src1_sel:DWORD
	v_lshrrev_b32_e32 v11, 21, v11
	v_mul_lo_u16_e32 v38, 36, v11
	v_sub_u16_e32 v38, v9, v38
	v_mul_u32_u24_e32 v64, 5, v38
	v_lshlrev_b32_e32 v92, 3, v64
	global_load_dwordx4 v[64:67], v92, s[8:9] offset:240
	global_load_dwordx4 v[68:71], v43, s[8:9] offset:256
	global_load_dwordx2 v[84:85], v41, s[8:9] offset:272
	global_load_dwordx2 v[86:87], v42, s[8:9] offset:272
	;; [unrolled: 1-line block ×3, first 2 shown]
	global_load_dwordx4 v[76:79], v92, s[8:9] offset:256
	ds_read2_b64 v[72:75], v28 offset0:80 offset1:224
	ds_read2_b64 v[80:83], v12 offset0:16 offset1:160
	v_lshlrev_b32_sdwa v33, v33, v91 dst_sel:DWORD dst_unused:UNUSED_PAD src0_sel:DWORD src1_sel:BYTE_0
	v_mul_u32_u24_e32 v11, 0x6c0, v11
	s_movk_i32 s4, 0x48
	v_cmp_gt_u32_e32 vcc, s4, v0
	s_movk_i32 s4, 0x47
	s_waitcnt vmcnt(10) lgkmcnt(1)
	v_mul_f32_e32 v12, v73, v45
	v_fma_f32 v43, v72, v44, -v12
	v_mul_f32_e32 v72, v72, v45
	s_waitcnt lgkmcnt(0)
	v_mul_f32_e32 v12, v81, v47
	v_fmac_f32_e32 v72, v73, v44
	v_fma_f32 v73, v80, v46, -v12
	v_mul_f32_e32 v80, v80, v47
	s_waitcnt vmcnt(9)
	v_mul_f32_e32 v41, v83, v51
	v_fmac_f32_e32 v80, v81, v46
	v_mul_f32_e32 v12, v75, v49
	v_mul_f32_e32 v28, v74, v49
	ds_read2_b64 v[44:47], v29 offset0:80 offset1:224
	v_fma_f32 v29, v82, v50, -v41
	v_mul_f32_e32 v41, v82, v51
	v_fma_f32 v12, v74, v48, -v12
	v_fmac_f32_e32 v28, v75, v48
	v_fmac_f32_e32 v41, v83, v50
	ds_read2_b64 v[48:51], v32 offset0:16 offset1:160
	s_waitcnt vmcnt(8) lgkmcnt(1)
	v_mul_f32_e32 v32, v45, v53
	v_fma_f32 v74, v44, v52, -v32
	v_mul_f32_e32 v75, v44, v53
	s_waitcnt vmcnt(7)
	v_mul_f32_e32 v42, v46, v57
	s_waitcnt lgkmcnt(0)
	v_mul_f32_e32 v32, v49, v55
	v_mul_f32_e32 v82, v48, v55
	v_fma_f32 v81, v48, v54, -v32
	v_fmac_f32_e32 v82, v49, v54
	ds_read_b64 v[48:49], v23
	v_mul_f32_e32 v32, v47, v57
	v_mul_f32_e32 v44, v51, v59
	v_fmac_f32_e32 v75, v45, v52
	v_fma_f32 v32, v46, v56, -v32
	v_fmac_f32_e32 v42, v47, v56
	v_fma_f32 v56, v50, v58, -v44
	ds_read2_b64 v[44:47], v34 offset0:48 offset1:192
	ds_read_b64 v[52:53], v16 offset:26496
	v_mul_f32_e32 v57, v50, v59
	s_waitcnt vmcnt(6) lgkmcnt(2)
	v_mul_f32_e32 v34, v61, v49
	v_fmac_f32_e32 v57, v51, v58
	v_fma_f32 v58, v60, v48, -v34
	v_mul_f32_e32 v59, v61, v48
	s_waitcnt lgkmcnt(1)
	v_mul_f32_e32 v34, v63, v47
	v_mul_f32_e32 v55, v63, v46
	v_fmac_f32_e32 v59, v60, v49
	v_fma_f32 v54, v62, v46, -v34
	v_fmac_f32_e32 v55, v62, v47
	ds_read2_b64 v[46:49], v31 offset0:48 offset1:192
	ds_read2_b32 v[50:51], v15 offset1:1
	s_waitcnt vmcnt(5)
	v_mul_f32_e32 v31, v45, v65
	v_fma_f32 v60, v44, v64, -v31
	v_mul_f32_e32 v61, v44, v65
	s_waitcnt lgkmcnt(1)
	v_mul_f32_e32 v31, v47, v67
	v_fma_f32 v62, v46, v66, -v31
	v_mul_f32_e32 v63, v46, v67
	s_waitcnt vmcnt(4)
	v_mul_f32_e32 v31, v69, v49
	v_fmac_f32_e32 v61, v45, v64
	v_fmac_f32_e32 v63, v47, v66
	v_fma_f32 v64, v68, v48, -v31
	v_mul_f32_e32 v65, v69, v48
	ds_read2_b64 v[44:47], v35 offset0:80 offset1:224
	s_waitcnt lgkmcnt(1)
	v_mul_f32_e32 v31, v51, v71
	v_mul_f32_e32 v67, v71, v50
	v_fmac_f32_e32 v65, v68, v49
	v_fma_f32 v66, v70, v50, -v31
	v_fmac_f32_e32 v67, v51, v70
	ds_read2_b64 v[48:51], v30 offset0:48 offset1:192
	s_waitcnt vmcnt(2) lgkmcnt(1)
	v_mul_f32_e32 v30, v47, v87
	v_mul_f32_e32 v31, v45, v85
	v_fma_f32 v70, v46, v86, -v30
	v_fma_f32 v68, v44, v84, -v31
	s_waitcnt vmcnt(1) lgkmcnt(0)
	v_mul_f32_e32 v30, v51, v89
	v_mul_f32_e32 v71, v46, v87
	v_fma_f32 v46, v50, v88, -v30
	global_load_dwordx2 v[30:31], v92, s[8:9] offset:272
	ds_read_b64 v[34:35], v16 offset:17280
	v_mul_f32_e32 v69, v44, v85
	s_waitcnt vmcnt(1)
	v_mul_f32_e32 v44, v49, v79
	v_fmac_f32_e32 v69, v45, v84
	v_fma_f32 v83, v48, v78, -v44
	ds_read_b64 v[44:45], v16
	v_mul_f32_e32 v79, v48, v79
	v_fmac_f32_e32 v71, v47, v86
	v_mul_f32_e32 v47, v50, v89
	v_fmac_f32_e32 v79, v49, v78
	s_waitcnt lgkmcnt(1)
	v_mul_f32_e32 v48, v35, v77
	v_add_f32_e32 v49, v64, v46
	v_fmac_f32_e32 v47, v51, v88
	v_fma_f32 v78, v34, v76, -v48
	v_add_f32_e32 v48, v58, v64
	v_fmac_f32_e32 v58, -0.5, v49
	v_add_f32_e32 v49, v59, v65
	v_mul_f32_e32 v77, v34, v77
	s_waitcnt lgkmcnt(0)
	v_add_f32_e32 v34, v45, v55
	v_add_f32_e32 v84, v49, v47
	v_sub_f32_e32 v85, v65, v47
	v_add_f32_e32 v47, v65, v47
	v_fmac_f32_e32 v77, v35, v76
	v_add_f32_e32 v35, v34, v67
	v_add_f32_e32 v34, v55, v67
	v_fmac_f32_e32 v59, -0.5, v47
	v_fmac_f32_e32 v45, -0.5, v34
	v_add_f32_e32 v34, v44, v54
	v_sub_f32_e32 v64, v64, v46
	v_mov_b32_e32 v47, v59
	v_sub_f32_e32 v76, v55, v67
	v_add_f32_e32 v67, v34, v66
	v_add_f32_e32 v34, v54, v66
	;; [unrolled: 1-line block ×3, first 2 shown]
	v_mov_b32_e32 v46, v58
	v_fmac_f32_e32 v47, 0xbf5db3d7, v64
	v_fmac_f32_e32 v46, 0x3f5db3d7, v85
	v_mul_f32_e32 v86, 0x3f5db3d7, v47
	v_fma_f32 v44, -0.5, v34, v44
	v_sub_f32_e32 v66, v54, v66
	v_fmac_f32_e32 v86, 0.5, v46
	v_mul_f32_e32 v87, 0xbf5db3d7, v46
	v_mul_u32_u24_e32 v46, 0x6c0, v90
	v_mov_b32_e32 v89, v44
	v_mov_b32_e32 v90, v45
	v_fmac_f32_e32 v87, 0.5, v47
	v_fmac_f32_e32 v89, 0x3f5db3d7, v76
	v_fmac_f32_e32 v90, 0xbf5db3d7, v66
	v_add3_u32 v88, 0, v46, v33
	v_add_f32_e32 v33, v67, v65
	v_add_f32_e32 v34, v35, v84
	;; [unrolled: 1-line block ×4, first 2 shown]
	v_fmac_f32_e32 v58, 0xbf5db3d7, v85
	ds_read_b64 v[48:49], v25
	ds_read_b64 v[50:51], v27
	;; [unrolled: 1-line block ×3, first 2 shown]
	s_waitcnt vmcnt(0) lgkmcnt(0)
	s_barrier
	ds_write2_b64 v88, v[33:34], v[46:47] offset1:36
	v_sub_f32_e32 v34, v35, v84
	v_fmac_f32_e32 v59, 0x3f5db3d7, v64
	v_mul_f32_e32 v35, -0.5, v58
	v_fmac_f32_e32 v35, 0x3f5db3d7, v59
	v_mul_f32_e32 v59, -0.5, v59
	v_fmac_f32_e32 v44, 0xbf5db3d7, v76
	v_fmac_f32_e32 v45, 0x3f5db3d7, v66
	;; [unrolled: 1-line block ×3, first 2 shown]
	v_sub_f32_e32 v33, v67, v65
	v_add_f32_e32 v46, v44, v35
	v_add_f32_e32 v47, v45, v59
	ds_write2_b64 v88, v[46:47], v[33:34] offset0:72 offset1:108
	v_sub_f32_e32 v34, v45, v59
	v_sub_f32_e32 v33, v44, v35
	;; [unrolled: 1-line block ×4, first 2 shown]
	ds_write2_b64 v88, v[44:45], v[33:34] offset0:144 offset1:180
	v_add_f32_e32 v33, v49, v80
	v_add_f32_e32 v35, v33, v82
	;; [unrolled: 1-line block ×5, first 2 shown]
	v_fmac_f32_e32 v49, -0.5, v33
	v_add_f32_e32 v33, v48, v73
	v_add_f32_e32 v34, v43, v74
	v_fmac_f32_e32 v43, -0.5, v47
	v_add_f32_e32 v47, v72, v75
	v_fmac_f32_e32 v72, -0.5, v59
	v_add_f32_e32 v45, v33, v81
	v_add_f32_e32 v33, v73, v81
	v_sub_f32_e32 v58, v75, v69
	v_add_f32_e32 v59, v34, v68
	v_sub_f32_e32 v64, v74, v68
	v_mov_b32_e32 v34, v43
	v_mov_b32_e32 v65, v72
	v_fmac_f32_e32 v34, 0x3f5db3d7, v58
	v_fmac_f32_e32 v65, 0xbf5db3d7, v64
	v_fma_f32 v48, -0.5, v33, v48
	v_sub_f32_e32 v44, v80, v82
	v_sub_f32_e32 v46, v73, v81
	v_add_f32_e32 v47, v47, v69
	v_mul_f32_e32 v66, 0x3f5db3d7, v65
	v_mul_f32_e32 v67, 0xbf5db3d7, v34
	v_mov_b32_e32 v68, v48
	v_mov_b32_e32 v69, v49
	v_fmac_f32_e32 v66, 0.5, v34
	v_fmac_f32_e32 v67, 0.5, v65
	v_mul_u32_u24_e32 v34, 0x6c0, v39
	v_lshlrev_b32_e32 v39, 3, v40
	v_fmac_f32_e32 v68, 0x3f5db3d7, v44
	v_fmac_f32_e32 v69, 0xbf5db3d7, v46
	v_add3_u32 v65, 0, v34, v39
	v_add_f32_e32 v33, v45, v59
	v_add_f32_e32 v34, v35, v47
	;; [unrolled: 1-line block ×4, first 2 shown]
	v_fmac_f32_e32 v43, 0xbf5db3d7, v58
	v_fmac_f32_e32 v72, 0x3f5db3d7, v64
	ds_write2_b64 v65, v[33:34], v[39:40] offset1:36
	v_sub_f32_e32 v34, v35, v47
	v_fmac_f32_e32 v48, 0xbf5db3d7, v44
	v_mul_f32_e32 v35, -0.5, v43
	v_mul_f32_e32 v44, -0.5, v72
	v_fmac_f32_e32 v49, 0x3f5db3d7, v46
	v_fmac_f32_e32 v35, 0x3f5db3d7, v72
	;; [unrolled: 1-line block ×3, first 2 shown]
	v_sub_f32_e32 v33, v45, v59
	v_add_f32_e32 v39, v48, v35
	v_add_f32_e32 v40, v49, v44
	ds_write2_b64 v65, v[39:40], v[33:34] offset0:72 offset1:108
	v_sub_f32_e32 v34, v49, v44
	v_sub_f32_e32 v33, v48, v35
	;; [unrolled: 1-line block ×4, first 2 shown]
	v_add_f32_e32 v35, v32, v70
	ds_write2_b64 v65, v[39:40], v[33:34] offset0:144 offset1:180
	v_add_f32_e32 v34, v12, v32
	v_fmac_f32_e32 v12, -0.5, v35
	v_add_f32_e32 v35, v28, v42
	v_add_f32_e32 v33, v51, v41
	;; [unrolled: 1-line block ×6, first 2 shown]
	v_sub_f32_e32 v44, v42, v71
	v_fmac_f32_e32 v28, -0.5, v35
	v_sub_f32_e32 v45, v32, v70
	v_mov_b32_e32 v32, v12
	v_fmac_f32_e32 v51, -0.5, v33
	v_add_f32_e32 v33, v50, v29
	v_add_f32_e32 v42, v34, v70
	v_fmac_f32_e32 v32, 0x3f5db3d7, v44
	v_mov_b32_e32 v34, v28
	v_sub_f32_e32 v40, v41, v57
	v_add_f32_e32 v41, v33, v56
	v_add_f32_e32 v33, v29, v56
	v_fmac_f32_e32 v34, 0xbf5db3d7, v45
	v_mul_f32_e32 v47, 0xbf5db3d7, v32
	v_mul_f32_e32 v46, 0x3f5db3d7, v34
	v_fmac_f32_e32 v47, 0.5, v34
	v_lshlrev_b32_e32 v34, 3, v37
	v_fma_f32 v37, -0.5, v33, v50
	v_sub_f32_e32 v29, v29, v56
	v_mov_b32_e32 v48, v37
	v_mov_b32_e32 v49, v51
	v_fmac_f32_e32 v46, 0.5, v32
	v_mul_u32_u24_e32 v32, 0x6c0, v36
	v_fmac_f32_e32 v48, 0x3f5db3d7, v40
	v_fmac_f32_e32 v49, 0xbf5db3d7, v29
	v_add3_u32 v36, 0, v32, v34
	v_add_f32_e32 v32, v41, v42
	v_add_f32_e32 v33, v39, v43
	;; [unrolled: 1-line block ×4, first 2 shown]
	v_fmac_f32_e32 v12, 0xbf5db3d7, v44
	v_fmac_f32_e32 v28, 0x3f5db3d7, v45
	ds_write2_b64 v36, v[32:33], v[34:35] offset1:36
	v_mul_f32_e32 v34, -0.5, v12
	v_mul_f32_e32 v35, -0.5, v28
	v_fmac_f32_e32 v37, 0xbf5db3d7, v40
	v_fmac_f32_e32 v51, 0x3f5db3d7, v29
	v_fmac_f32_e32 v34, 0x3f5db3d7, v28
	v_fmac_f32_e32 v35, 0xbf5db3d7, v12
	v_sub_f32_e32 v32, v41, v42
	v_sub_f32_e32 v33, v39, v43
	v_add_f32_e32 v28, v37, v34
	v_add_f32_e32 v29, v51, v35
	v_mul_f32_e32 v12, v53, v31
	ds_write2_b64 v36, v[28:29], v[32:33] offset0:72 offset1:108
	v_sub_f32_e32 v29, v51, v35
	v_sub_f32_e32 v28, v37, v34
	;; [unrolled: 1-line block ×4, first 2 shown]
	v_fma_f32 v12, v52, v30, -v12
	ds_write2_b64 v36, v[32:33], v[28:29] offset0:144 offset1:180
	v_mul_f32_e32 v28, v52, v31
	v_add_f32_e32 v35, v78, v12
	v_fmac_f32_e32 v28, v53, v30
	v_add_f32_e32 v29, v55, v63
	v_add_f32_e32 v34, v60, v78
	v_fmac_f32_e32 v60, -0.5, v35
	v_add_f32_e32 v35, v61, v77
	v_add_f32_e32 v30, v29, v79
	;; [unrolled: 1-line block ×4, first 2 shown]
	v_sub_f32_e32 v36, v77, v28
	v_add_f32_e32 v28, v77, v28
	v_fmac_f32_e32 v55, -0.5, v29
	v_add_f32_e32 v29, v54, v62
	v_fmac_f32_e32 v61, -0.5, v28
	v_add_f32_e32 v32, v29, v83
	v_add_f32_e32 v29, v62, v83
	;; [unrolled: 1-line block ×3, first 2 shown]
	v_sub_f32_e32 v37, v78, v12
	v_mov_b32_e32 v12, v60
	v_mov_b32_e32 v28, v61
	v_fmac_f32_e32 v12, 0x3f5db3d7, v36
	v_fmac_f32_e32 v28, 0xbf5db3d7, v37
	v_fma_f32 v41, -0.5, v29, v54
	v_sub_f32_e32 v31, v63, v79
	v_sub_f32_e32 v33, v62, v83
	v_mul_f32_e32 v39, 0x3f5db3d7, v28
	v_mul_f32_e32 v40, 0xbf5db3d7, v12
	v_mov_b32_e32 v42, v41
	v_mov_b32_e32 v43, v55
	v_fmac_f32_e32 v39, 0.5, v12
	v_fmac_f32_e32 v40, 0.5, v28
	v_lshlrev_b32_e32 v12, 3, v38
	v_fmac_f32_e32 v42, 0x3f5db3d7, v31
	v_fmac_f32_e32 v43, 0xbf5db3d7, v33
	v_add3_u32 v38, 0, v11, v12
	v_add_f32_e32 v11, v32, v34
	v_add_f32_e32 v12, v30, v35
	;; [unrolled: 1-line block ×4, first 2 shown]
	v_fmac_f32_e32 v60, 0xbf5db3d7, v36
	v_fmac_f32_e32 v61, 0x3f5db3d7, v37
	ds_write2_b64 v38, v[11:12], v[28:29] offset1:36
	v_sub_f32_e32 v12, v30, v35
	v_fmac_f32_e32 v41, 0xbf5db3d7, v31
	v_mul_f32_e32 v30, -0.5, v60
	v_mul_f32_e32 v31, -0.5, v61
	v_fmac_f32_e32 v55, 0x3f5db3d7, v33
	v_fmac_f32_e32 v30, 0x3f5db3d7, v61
	v_fmac_f32_e32 v31, 0xbf5db3d7, v60
	v_sub_f32_e32 v11, v32, v34
	v_add_f32_e32 v28, v41, v30
	v_add_f32_e32 v29, v55, v31
	ds_write2_b64 v38, v[28:29], v[11:12] offset0:72 offset1:108
	v_sub_f32_e32 v12, v55, v31
	v_sub_f32_e32 v11, v41, v30
	;; [unrolled: 1-line block ×4, first 2 shown]
	ds_write2_b64 v38, v[28:29], v[11:12] offset0:144 offset1:180
	v_mul_u32_u24_e32 v11, 3, v0
	v_lshlrev_b32_e32 v30, 3, v11
	v_add_u32_e32 v11, 0xffffffb8, v0
	v_cndmask_b32_e32 v75, v11, v4, vcc
	v_mov_b32_e32 v12, 0
	v_mul_i32_i24_e32 v11, 3, v75
	v_lshlrev_b64 v[35:36], 3, v[11:12]
	s_waitcnt lgkmcnt(0)
	s_barrier
	global_load_dwordx4 v[31:34], v30, s[8:9] offset:1680
	v_mov_b32_e32 v29, s9
	v_add_co_u32_e32 v55, vcc, s8, v35
	v_addc_co_u32_e32 v56, vcc, v29, v36, vcc
	global_load_dwordx4 v[35:38], v[55:56], off offset:1680
	global_load_dwordx4 v[39:42], v30, s[8:9] offset:3408
	v_lshrrev_b16_e32 v11, 3, v9
	v_mul_u32_u24_e32 v11, 0x12f7, v11
	v_lshrrev_b32_e32 v11, 17, v11
	v_mul_lo_u16_e32 v11, 0xd8, v11
	v_sub_u16_e32 v11, v9, v11
	v_mul_u32_u24_e32 v28, 3, v11
	v_lshlrev_b32_e32 v28, 3, v28
	v_lshrrev_b16_e32 v47, 3, v6
	global_load_dwordx4 v[43:46], v28, s[8:9] offset:1680
	v_mul_u32_u24_e32 v47, 0x12f7, v47
	v_lshrrev_b32_e32 v76, 17, v47
	v_mul_lo_u16_e32 v47, 0xd8, v76
	v_sub_u16_e32 v77, v6, v47
	v_mul_u32_u24_e32 v47, 3, v77
	v_lshlrev_b32_e32 v57, 3, v47
	global_load_dwordx4 v[47:50], v57, s[8:9] offset:1680
	v_lshrrev_b16_e32 v51, 3, v8
	v_mul_u32_u24_e32 v51, 0x12f7, v51
	v_lshrrev_b32_e32 v51, 17, v51
	v_mul_lo_u16_e32 v51, 0xd8, v51
	v_sub_u16_e32 v78, v8, v51
	v_mul_u32_u24_e32 v51, 3, v78
	v_lshlrev_b32_e32 v59, 3, v51
	global_load_dwordx4 v[51:54], v59, s[8:9] offset:1680
	global_load_dwordx2 v[63:64], v30, s[8:9] offset:1696
	global_load_dwordx2 v[65:66], v[55:56], off offset:1696
	global_load_dwordx2 v[67:68], v30, s[8:9] offset:3424
	global_load_dwordx2 v[69:70], v28, s[8:9] offset:1696
	;; [unrolled: 1-line block ×4, first 2 shown]
	ds_read2_b64 v[55:58], v24 offset0:96 offset1:240
	ds_read2_b64 v[59:62], v13 offset0:64 offset1:208
	v_cmp_lt_u32_e32 vcc, s4, v0
	v_lshl_add_u32 v11, v11, 3, 0
	s_movk_i32 s4, 0x1000
	s_waitcnt vmcnt(11) lgkmcnt(1)
	v_mul_f32_e32 v28, v32, v56
	v_fma_f32 v79, v31, v55, -v28
	v_mul_f32_e32 v55, v32, v55
	s_waitcnt lgkmcnt(0)
	v_mul_f32_e32 v28, v34, v60
	v_fmac_f32_e32 v55, v31, v56
	v_fma_f32 v56, v33, v59, -v28
	v_mul_f32_e32 v59, v34, v59
	s_waitcnt vmcnt(10)
	v_mul_f32_e32 v28, v58, v36
	v_fmac_f32_e32 v59, v33, v60
	v_fma_f32 v60, v57, v35, -v28
	v_mul_f32_e32 v57, v57, v36
	v_mul_f32_e32 v28, v62, v38
	v_fmac_f32_e32 v57, v58, v35
	ds_read2_b64 v[31:34], v20 offset1:144
	v_fma_f32 v58, v61, v37, -v28
	v_mul_f32_e32 v61, v61, v38
	v_fmac_f32_e32 v61, v62, v37
	ds_read2_b64 v[35:38], v22 offset0:96 offset1:240
	s_waitcnt vmcnt(9) lgkmcnt(1)
	v_mul_f32_e32 v28, v32, v40
	v_fma_f32 v62, v31, v39, -v28
	v_mul_f32_e32 v80, v31, v40
	s_waitcnt vmcnt(8)
	v_mul_f32_e32 v84, v33, v44
	s_waitcnt lgkmcnt(0)
	v_mul_f32_e32 v28, v36, v42
	v_fma_f32 v81, v35, v41, -v28
	v_mul_f32_e32 v28, v34, v44
	v_fmac_f32_e32 v80, v32, v39
	v_mul_f32_e32 v82, v35, v42
	v_fma_f32 v83, v33, v43, -v28
	v_fmac_f32_e32 v84, v34, v43
	v_mul_f32_e32 v28, v38, v46
	ds_read2_b64 v[31:34], v21 offset0:32 offset1:176
	v_mul_f32_e32 v86, v37, v46
	v_fmac_f32_e32 v82, v36, v41
	v_fma_f32 v85, v37, v45, -v28
	v_fmac_f32_e32 v86, v38, v45
	ds_read2_b64 v[35:38], v15 offset1:144
	s_waitcnt vmcnt(7) lgkmcnt(1)
	v_mul_f32_e32 v28, v32, v48
	v_fma_f32 v87, v31, v47, -v28
	v_mul_f32_e32 v48, v31, v48
	v_fmac_f32_e32 v48, v32, v47
	s_waitcnt lgkmcnt(0)
	v_mul_f32_e32 v28, v36, v50
	v_fma_f32 v47, v35, v49, -v28
	v_mul_f32_e32 v50, v35, v50
	s_waitcnt vmcnt(6)
	v_mul_f32_e32 v28, v34, v52
	v_mul_f32_e32 v52, v33, v52
	v_fmac_f32_e32 v50, v36, v49
	v_fma_f32 v49, v33, v51, -v28
	v_fmac_f32_e32 v52, v34, v51
	ds_read2_b64 v[31:34], v19 offset0:32 offset1:176
	v_mul_f32_e32 v28, v38, v54
	v_mul_f32_e32 v54, v37, v54
	v_fma_f32 v51, v37, v53, -v28
	v_fmac_f32_e32 v54, v38, v53
	s_waitcnt vmcnt(5) lgkmcnt(0)
	v_mul_f32_e32 v28, v64, v32
	v_mul_f32_e32 v40, v64, v31
	ds_read2_b64 v[35:38], v5 offset0:64 offset1:208
	v_fma_f32 v39, v63, v31, -v28
	v_fmac_f32_e32 v40, v63, v32
	s_waitcnt vmcnt(4)
	v_mul_f32_e32 v28, v34, v66
	v_mul_f32_e32 v63, v33, v66
	v_fma_f32 v53, v33, v65, -v28
	v_fmac_f32_e32 v63, v34, v65
	ds_read2_b64 v[31:34], v14 offset0:96 offset1:240
	s_waitcnt vmcnt(3) lgkmcnt(1)
	v_mul_f32_e32 v28, v36, v68
	v_mul_f32_e32 v65, v35, v68
	v_fma_f32 v64, v35, v67, -v28
	v_fmac_f32_e32 v65, v36, v67
	s_waitcnt vmcnt(2)
	v_mul_f32_e32 v28, v38, v70
	v_mul_f32_e32 v67, v37, v70
	v_fma_f32 v66, v37, v69, -v28
	v_fmac_f32_e32 v67, v38, v69
	s_waitcnt vmcnt(1) lgkmcnt(0)
	v_mul_f32_e32 v28, v32, v72
	v_mul_f32_e32 v69, v31, v72
	v_fma_f32 v68, v31, v71, -v28
	v_fmac_f32_e32 v69, v32, v71
	ds_read_b64 v[31:32], v16
	s_waitcnt vmcnt(0)
	v_mul_f32_e32 v28, v34, v74
	v_mul_f32_e32 v71, v33, v74
	v_fma_f32 v70, v33, v73, -v28
	v_fmac_f32_e32 v71, v34, v73
	v_lshl_add_u32 v28, v8, 3, 0
	ds_read_b64 v[33:34], v23
	ds_read_b64 v[35:36], v28
	;; [unrolled: 1-line block ×3, first 2 shown]
	s_waitcnt lgkmcnt(3)
	v_sub_f32_e32 v56, v31, v56
	v_sub_f32_e32 v59, v32, v59
	v_sub_f32_e32 v43, v79, v39
	v_sub_f32_e32 v44, v55, v40
	v_fma_f32 v41, v31, 2.0, -v56
	v_fma_f32 v42, v32, 2.0, -v59
	;; [unrolled: 1-line block ×4, first 2 shown]
	v_sub_f32_e32 v31, v41, v31
	v_sub_f32_e32 v32, v42, v32
	v_fma_f32 v39, v41, 2.0, -v31
	v_fma_f32 v40, v42, 2.0, -v32
	v_sub_f32_e32 v41, v56, v44
	v_add_f32_e32 v42, v59, v43
	v_add_u32_e32 v55, 0xd00, v16
	ds_read_b64 v[43:44], v27
	ds_read_b64 v[45:46], v26
	s_waitcnt lgkmcnt(0)
	s_barrier
	ds_write2_b64 v55, v[31:32], v[41:42] offset0:16 offset1:232
	v_fma_f32 v31, v56, 2.0, -v41
	v_fma_f32 v32, v59, 2.0, -v42
	ds_write2_b64 v16, v[39:40], v[31:32] offset1:216
	v_sub_f32_e32 v41, v37, v58
	v_sub_f32_e32 v42, v38, v61
	;; [unrolled: 1-line block ×4, first 2 shown]
	v_fma_f32 v37, v37, 2.0, -v41
	v_fma_f32 v38, v38, 2.0, -v42
	;; [unrolled: 1-line block ×4, first 2 shown]
	v_mov_b32_e32 v53, 0x1b00
	v_sub_f32_e32 v31, v37, v31
	v_sub_f32_e32 v32, v38, v32
	;; [unrolled: 1-line block ×3, first 2 shown]
	v_add_f32_e32 v40, v42, v40
	v_cndmask_b32_e32 v53, 0, v53, vcc
	v_lshlrev_b32_e32 v55, 3, v75
	v_fma_f32 v37, v37, 2.0, -v31
	v_fma_f32 v38, v38, 2.0, -v32
	;; [unrolled: 1-line block ×4, first 2 shown]
	v_add3_u32 v53, 0, v53, v55
	ds_write2_b64 v53, v[37:38], v[41:42] offset1:216
	v_add_u32_e32 v37, 0xd00, v53
	ds_write2_b64 v37, v[31:32], v[39:40] offset0:16 offset1:232
	v_sub_f32_e32 v41, v43, v81
	v_sub_f32_e32 v42, v44, v82
	;; [unrolled: 1-line block ×4, first 2 shown]
	v_fma_f32 v37, v43, 2.0, -v41
	v_fma_f32 v38, v44, 2.0, -v42
	;; [unrolled: 1-line block ×4, first 2 shown]
	v_sub_f32_e32 v31, v37, v31
	v_sub_f32_e32 v32, v38, v32
	;; [unrolled: 1-line block ×3, first 2 shown]
	v_add_f32_e32 v40, v42, v40
	v_fma_f32 v37, v37, 2.0, -v31
	v_fma_f32 v38, v38, 2.0, -v32
	;; [unrolled: 1-line block ×4, first 2 shown]
	v_add_u32_e32 v43, 0x1d00, v16
	ds_write2_b64 v43, v[37:38], v[41:42] offset0:8 offset1:224
	v_add_u32_e32 v37, 0x2a00, v16
	ds_write2_b64 v37, v[31:32], v[39:40] offset0:24 offset1:240
	v_sub_f32_e32 v41, v45, v85
	v_sub_f32_e32 v42, v46, v86
	;; [unrolled: 1-line block ×4, first 2 shown]
	v_fma_f32 v37, v45, 2.0, -v41
	v_fma_f32 v38, v46, 2.0, -v42
	;; [unrolled: 1-line block ×4, first 2 shown]
	v_sub_f32_e32 v31, v37, v31
	v_sub_f32_e32 v32, v38, v32
	;; [unrolled: 1-line block ×3, first 2 shown]
	v_add_f32_e32 v40, v42, v40
	v_fma_f32 v37, v37, 2.0, -v31
	v_fma_f32 v38, v38, 2.0, -v32
	;; [unrolled: 1-line block ×4, first 2 shown]
	v_add_u32_e32 v43, 0x3600, v11
	v_add_u32_e32 v11, 0x4300, v11
	ds_write2_b64 v43, v[37:38], v[41:42] offset1:216
	ds_write2_b64 v11, v[31:32], v[39:40] offset0:16 offset1:232
	v_sub_f32_e32 v11, v33, v47
	v_sub_f32_e32 v40, v34, v50
	v_sub_f32_e32 v38, v87, v68
	v_sub_f32_e32 v37, v48, v69
	v_fma_f32 v33, v33, 2.0, -v11
	v_fma_f32 v34, v34, 2.0, -v40
	;; [unrolled: 1-line block ×4, first 2 shown]
	v_sub_f32_e32 v37, v11, v37
	v_sub_f32_e32 v31, v33, v31
	;; [unrolled: 1-line block ×3, first 2 shown]
	v_add_f32_e32 v38, v40, v38
	v_fma_f32 v39, v11, 2.0, -v37
	v_mul_u32_u24_e32 v11, 0x1b00, v76
	v_lshlrev_b32_e32 v41, 3, v77
	v_fma_f32 v33, v33, 2.0, -v31
	v_fma_f32 v34, v34, 2.0, -v32
	;; [unrolled: 1-line block ×3, first 2 shown]
	v_add3_u32 v11, 0, v11, v41
	ds_write2_b64 v11, v[33:34], v[39:40] offset1:216
	v_add_u32_e32 v11, 0xd00, v11
	ds_write2_b64 v11, v[31:32], v[37:38] offset0:16 offset1:232
	v_sub_f32_e32 v11, v35, v51
	v_sub_f32_e32 v38, v36, v54
	v_fma_f32 v33, v35, 2.0, -v11
	v_sub_f32_e32 v35, v52, v71
	v_fma_f32 v34, v36, 2.0, -v38
	;; [unrolled: 2-line block ×4, first 2 shown]
	v_fma_f32 v37, v11, 2.0, -v35
	v_lshl_add_u32 v11, v78, 3, 0
	v_sub_f32_e32 v31, v33, v31
	v_sub_f32_e32 v32, v34, v32
	v_add_f32_e32 v36, v38, v36
	v_add_u32_e32 v39, 0x5000, v11
	v_add_u32_e32 v11, 0x5e00, v11
	v_add_co_u32_e32 v58, vcc, s8, v30
	v_fma_f32 v33, v33, 2.0, -v31
	v_fma_f32 v34, v34, 2.0, -v32
	;; [unrolled: 1-line block ×3, first 2 shown]
	ds_write2_b64 v11, v[31:32], v[35:36] offset0:16 offset1:232
	v_addc_co_u32_e32 v59, vcc, 0, v29, vcc
	v_mul_i32_i24_e32 v11, 3, v4
	ds_write2_b64 v39, v[33:34], v[37:38] offset0:32 offset1:248
	v_add_co_u32_e32 v30, vcc, s4, v58
	v_lshlrev_b64 v[38:39], 3, v[11:12]
	v_addc_co_u32_e32 v31, vcc, 0, v59, vcc
	s_waitcnt lgkmcnt(0)
	s_barrier
	ds_read2_b64 v[34:37], v24 offset0:96 offset1:240
	v_add_co_u32_e32 v24, vcc, s8, v38
	v_addc_co_u32_e32 v60, vcc, v29, v39, vcc
	v_mul_i32_i24_e32 v11, 3, v10
	v_add_co_u32_e32 v38, vcc, s4, v24
	v_lshlrev_b64 v[42:43], 3, v[11:12]
	v_addc_co_u32_e32 v39, vcc, 0, v60, vcc
	v_add_co_u32_e32 v61, vcc, s8, v42
	v_addc_co_u32_e32 v66, vcc, v29, v43, vcc
	v_mul_i32_i24_e32 v11, 3, v9
	global_load_dwordx4 v[30:33], v[30:31], off offset:2768
	v_add_co_u32_e32 v42, vcc, s4, v61
	global_load_dwordx4 v[38:41], v[38:39], off offset:2768
	v_lshlrev_b64 v[46:47], 3, v[11:12]
	v_addc_co_u32_e32 v43, vcc, 0, v66, vcc
	v_add_co_u32_e32 v68, vcc, s8, v46
	v_addc_co_u32_e32 v69, vcc, v29, v47, vcc
	v_mul_i32_i24_e32 v11, 3, v6
	v_add_co_u32_e32 v46, vcc, s4, v68
	v_lshlrev_b64 v[50:51], 3, v[11:12]
	v_addc_co_u32_e32 v47, vcc, 0, v69, vcc
	v_add_co_u32_e32 v70, vcc, s8, v50
	global_load_dwordx4 v[42:45], v[42:43], off offset:2768
	v_addc_co_u32_e32 v71, vcc, v29, v51, vcc
	global_load_dwordx4 v[46:49], v[46:47], off offset:2768
	v_mul_i32_i24_e32 v11, 3, v8
	v_add_co_u32_e32 v50, vcc, s4, v70
	v_lshlrev_b64 v[54:55], 3, v[11:12]
	v_addc_co_u32_e32 v51, vcc, 0, v71, vcc
	v_add_co_u32_e32 v11, vcc, s8, v54
	v_addc_co_u32_e32 v29, vcc, v29, v55, vcc
	v_add_co_u32_e32 v54, vcc, s4, v11
	v_addc_co_u32_e32 v55, vcc, 0, v29, vcc
	s_movk_i32 s4, 0x1ad0
	v_add_co_u32_e32 v58, vcc, s4, v58
	global_load_dwordx4 v[50:53], v[50:51], off offset:2768
	v_addc_co_u32_e32 v59, vcc, 0, v59, vcc
	global_load_dwordx4 v[54:57], v[54:55], off offset:2768
	s_nop 0
	global_load_dwordx2 v[62:63], v[58:59], off offset:16
	v_add_co_u32_e32 v58, vcc, s4, v24
	v_addc_co_u32_e32 v59, vcc, 0, v60, vcc
	global_load_dwordx2 v[64:65], v[58:59], off offset:16
	v_add_co_u32_e32 v58, vcc, s4, v61
	v_addc_co_u32_e32 v59, vcc, 0, v66, vcc
	;; [unrolled: 3-line block ×5, first 2 shown]
	global_load_dwordx2 v[72:73], v[58:59], off offset:16
	ds_read2_b64 v[58:61], v13 offset0:64 offset1:208
	v_cmp_ne_u32_e32 vcc, 0, v0
	s_waitcnt vmcnt(11) lgkmcnt(0)
	v_mul_f32_e32 v13, v33, v59
	v_mul_f32_e32 v11, v31, v35
	v_mul_f32_e32 v24, v31, v34
	v_fma_f32 v74, v32, v58, -v13
	v_mul_f32_e32 v58, v33, v58
	v_fma_f32 v11, v30, v34, -v11
	v_fmac_f32_e32 v24, v30, v35
	v_fmac_f32_e32 v58, v32, v59
	s_waitcnt vmcnt(10)
	v_mul_f32_e32 v13, v37, v39
	ds_read2_b64 v[29:32], v20 offset1:144
	v_fma_f32 v59, v36, v38, -v13
	v_mul_f32_e32 v39, v36, v39
	ds_read2_b64 v[33:36], v22 offset0:96 offset1:240
	v_mul_f32_e32 v13, v61, v41
	v_fma_f32 v75, v60, v40, -v13
	v_mul_f32_e32 v41, v60, v41
	v_fmac_f32_e32 v41, v61, v40
	v_fmac_f32_e32 v39, v37, v38
	s_waitcnt vmcnt(9) lgkmcnt(1)
	v_mul_f32_e32 v13, v30, v43
	v_fma_f32 v40, v29, v42, -v13
	v_mul_f32_e32 v43, v29, v43
	s_waitcnt lgkmcnt(0)
	v_mul_f32_e32 v13, v34, v45
	v_fmac_f32_e32 v43, v30, v42
	v_fma_f32 v42, v33, v44, -v13
	v_mul_f32_e32 v45, v33, v45
	s_waitcnt vmcnt(8)
	v_mul_f32_e32 v13, v32, v47
	v_mul_f32_e32 v47, v31, v47
	v_fmac_f32_e32 v45, v34, v44
	v_fma_f32 v44, v31, v46, -v13
	v_fmac_f32_e32 v47, v32, v46
	v_mul_f32_e32 v13, v36, v49
	ds_read2_b64 v[29:32], v21 offset0:32 offset1:176
	v_mul_f32_e32 v49, v35, v49
	v_fma_f32 v46, v35, v48, -v13
	v_fmac_f32_e32 v49, v36, v48
	ds_read2_b64 v[33:36], v15 offset1:144
	ds_read2_b64 v[19:22], v19 offset0:32 offset1:176
	s_waitcnt vmcnt(7) lgkmcnt(2)
	v_mul_f32_e32 v13, v30, v51
	v_fma_f32 v15, v29, v50, -v13
	v_mul_f32_e32 v48, v29, v51
	s_waitcnt lgkmcnt(1)
	v_mul_f32_e32 v13, v34, v53
	v_fmac_f32_e32 v48, v30, v50
	v_fma_f32 v50, v33, v52, -v13
	v_mul_f32_e32 v51, v33, v53
	s_waitcnt vmcnt(6)
	v_mul_f32_e32 v13, v32, v55
	v_mul_f32_e32 v53, v31, v55
	v_fmac_f32_e32 v51, v34, v52
	v_fma_f32 v52, v31, v54, -v13
	v_fmac_f32_e32 v53, v32, v54
	v_mul_f32_e32 v13, v36, v57
	v_mul_f32_e32 v55, v35, v57
	ds_read2_b64 v[29:32], v5 offset0:64 offset1:208
	v_fma_f32 v54, v35, v56, -v13
	v_fmac_f32_e32 v55, v36, v56
	s_waitcnt vmcnt(5) lgkmcnt(1)
	v_mul_f32_e32 v13, v63, v20
	v_mul_f32_e32 v34, v63, v19
	s_waitcnt vmcnt(4)
	v_mul_f32_e32 v5, v22, v65
	v_mul_f32_e32 v56, v21, v65
	v_fma_f32 v33, v62, v19, -v13
	v_fmac_f32_e32 v34, v62, v20
	v_fma_f32 v5, v21, v64, -v5
	v_fmac_f32_e32 v56, v22, v64
	ds_read2_b64 v[19:22], v14 offset0:96 offset1:240
	s_waitcnt vmcnt(3) lgkmcnt(1)
	v_mul_f32_e32 v13, v30, v67
	v_fma_f32 v57, v29, v66, -v13
	s_waitcnt vmcnt(2)
	v_mul_f32_e32 v13, v32, v69
	v_fma_f32 v61, v31, v68, -v13
	s_waitcnt vmcnt(1) lgkmcnt(0)
	v_mul_f32_e32 v13, v20, v71
	v_fma_f32 v63, v19, v70, -v13
	s_waitcnt vmcnt(0)
	v_mul_f32_e32 v13, v22, v73
	v_fma_f32 v65, v21, v72, -v13
	ds_read_b64 v[13:14], v16
	v_mul_f32_e32 v60, v29, v67
	v_fmac_f32_e32 v60, v30, v66
	v_mul_f32_e32 v62, v31, v69
	v_mul_f32_e32 v64, v19, v71
	;; [unrolled: 1-line block ×3, first 2 shown]
	s_waitcnt lgkmcnt(0)
	v_sub_f32_e32 v37, v13, v74
	v_sub_f32_e32 v38, v14, v58
	;; [unrolled: 1-line block ×4, first 2 shown]
	v_fmac_f32_e32 v62, v32, v68
	v_fmac_f32_e32 v64, v20, v70
	;; [unrolled: 1-line block ×3, first 2 shown]
	ds_read_b64 v[19:20], v23
	ds_read_b64 v[21:22], v28
	;; [unrolled: 1-line block ×3, first 2 shown]
	v_fma_f32 v31, v13, 2.0, -v37
	v_fma_f32 v32, v14, 2.0, -v38
	v_fma_f32 v11, v11, 2.0, -v58
	v_fma_f32 v14, v24, 2.0, -v67
	v_sub_f32_e32 v13, v31, v11
	v_sub_f32_e32 v14, v32, v14
	v_fma_f32 v31, v31, 2.0, -v13
	v_fma_f32 v32, v32, 2.0, -v14
	ds_read_b64 v[33:34], v27
	ds_read_b64 v[35:36], v26
	s_waitcnt lgkmcnt(0)
	s_barrier
	ds_write_b64 v16, v[31:32]
	v_sub_f32_e32 v31, v37, v67
	v_add_f32_e32 v32, v38, v58
	v_fma_f32 v37, v37, 2.0, -v31
	v_fma_f32 v38, v38, 2.0, -v32
	ds_write_b64 v16, v[37:38] offset:6912
	ds_write_b64 v16, v[13:14] offset:13824
	ds_write_b64 v16, v[31:32] offset:20736
	v_sub_f32_e32 v11, v29, v75
	v_sub_f32_e32 v24, v30, v41
	v_sub_f32_e32 v5, v59, v5
	v_sub_f32_e32 v31, v39, v56
	v_fma_f32 v29, v29, 2.0, -v11
	v_fma_f32 v30, v30, 2.0, -v24
	v_fma_f32 v13, v59, 2.0, -v5
	v_fma_f32 v14, v39, 2.0, -v31
	v_sub_f32_e32 v13, v29, v13
	v_sub_f32_e32 v14, v30, v14
	v_fma_f32 v29, v29, 2.0, -v13
	v_fma_f32 v30, v30, 2.0, -v14
	ds_write_b64 v25, v[29:30]
	v_sub_f32_e32 v29, v11, v31
	v_add_f32_e32 v30, v24, v5
	v_fma_f32 v31, v11, 2.0, -v29
	v_fma_f32 v32, v24, 2.0, -v30
	ds_write_b64 v25, v[31:32] offset:6912
	ds_write_b64 v25, v[13:14] offset:13824
	ds_write_b64 v25, v[29:30] offset:20736
	v_sub_f32_e32 v5, v33, v42
	v_sub_f32_e32 v11, v34, v45
	v_sub_f32_e32 v29, v40, v57
	v_sub_f32_e32 v30, v43, v60
	v_fma_f32 v24, v33, 2.0, -v5
	v_fma_f32 v25, v34, 2.0, -v11
	v_fma_f32 v13, v40, 2.0, -v29
	v_fma_f32 v14, v43, 2.0, -v30
	v_sub_f32_e32 v13, v24, v13
	v_sub_f32_e32 v14, v25, v14
	v_fma_f32 v24, v24, 2.0, -v13
	v_fma_f32 v25, v25, 2.0, -v14
	;; [unrolled: 20-line block ×4, first 2 shown]
	ds_write_b64 v23, v[19:20]
	v_sub_f32_e32 v19, v5, v25
	v_add_f32_e32 v20, v11, v24
	v_fma_f32 v24, v5, 2.0, -v19
	v_fma_f32 v25, v11, 2.0, -v20
	v_sub_f32_e32 v5, v21, v54
	v_sub_f32_e32 v11, v22, v55
	ds_write_b64 v23, v[24:25] offset:6912
	ds_write_b64 v23, v[13:14] offset:13824
	;; [unrolled: 1-line block ×3, first 2 shown]
	v_fma_f32 v15, v21, 2.0, -v5
	v_fma_f32 v20, v22, 2.0, -v11
	v_sub_f32_e32 v21, v52, v65
	v_sub_f32_e32 v22, v53, v66
	v_fma_f32 v13, v52, 2.0, -v21
	v_fma_f32 v14, v53, 2.0, -v22
	v_sub_f32_e32 v13, v15, v13
	v_sub_f32_e32 v14, v20, v14
	v_fma_f32 v19, v15, 2.0, -v13
	v_fma_f32 v20, v20, 2.0, -v14
	ds_write_b64 v28, v[19:20]
	v_sub_f32_e32 v19, v5, v22
	v_add_f32_e32 v20, v11, v21
	v_fma_f32 v21, v5, 2.0, -v19
	v_fma_f32 v22, v11, 2.0, -v20
	ds_write_b64 v28, v[21:22] offset:6912
	ds_write_b64 v28, v[13:14] offset:13824
	ds_write_b64 v28, v[19:20] offset:20736
	s_waitcnt lgkmcnt(0)
	s_barrier
	ds_read_b64 v[14:15], v16
	v_sub_u32_e32 v19, 0, v1
                                        ; implicit-def: $vgpr1
                                        ; implicit-def: $vgpr13
	s_and_saveexec_b64 s[4:5], vcc
	s_xor_b64 s[4:5], exec, s[4:5]
	s_cbranch_execz .LBB0_15
; %bb.14:
	v_mov_b32_e32 v1, v12
	v_lshlrev_b64 v[11:12], 3, v[0:1]
	v_mov_b32_e32 v1, s7
	v_add_co_u32_e32 v11, vcc, s6, v11
	v_addc_co_u32_e32 v12, vcc, v1, v12, vcc
	global_load_dwordx2 v[11:12], v[11:12], off
	ds_read_b64 v[20:21], v19 offset:27648
	s_waitcnt lgkmcnt(0)
	v_sub_f32_e32 v13, v14, v20
	v_add_f32_e32 v5, v20, v14
	v_add_f32_e32 v1, v21, v15
	v_sub_f32_e32 v14, v15, v21
	v_mul_f32_e32 v13, 0.5, v13
	v_mul_f32_e32 v15, 0.5, v1
	;; [unrolled: 1-line block ×3, first 2 shown]
	s_waitcnt vmcnt(0)
	v_mul_f32_e32 v14, v12, v13
	v_fma_f32 v22, 0.5, v5, v14
	v_fma_f32 v20, v15, v12, v1
	v_fma_f32 v21, v15, v12, -v1
	v_fma_f32 v5, v5, 0.5, -v14
	v_fmac_f32_e32 v22, v11, v15
	v_fma_f32 v1, -v11, v13, v20
	v_fma_f32 v12, -v11, v15, v5
	ds_write_b32 v16, v22
	v_fma_f32 v13, -v11, v13, v21
                                        ; implicit-def: $vgpr14_vgpr15
.LBB0_15:
	s_or_saveexec_b64 s[4:5], s[4:5]
	v_mul_i32_i24_e32 v20, 0xffffffd8, v4
	v_mul_i32_i24_e32 v21, 0xffffffd8, v10
	v_mul_i32_i24_e32 v22, 0xffffffd8, v9
	s_xor_b64 exec, exec, s[4:5]
	s_cbranch_execz .LBB0_17
; %bb.16:
	v_mov_b32_e32 v1, 0
	ds_read_b32 v5, v1 offset:13828
	s_waitcnt lgkmcnt(1)
	v_add_f32_e32 v11, v14, v15
	v_sub_f32_e32 v12, v14, v15
	v_mov_b32_e32 v13, v1
	ds_write_b32 v16, v11
	s_waitcnt lgkmcnt(1)
	v_xor_b32_e32 v5, 0x80000000, v5
	ds_write_b32 v1, v5 offset:13828
.LBB0_17:
	s_or_b64 exec, exec, s[4:5]
	v_mov_b32_e32 v5, 0
	s_waitcnt lgkmcnt(0)
	v_lshlrev_b64 v[14:15], 3, v[4:5]
	v_mov_b32_e32 v4, s7
	v_add_co_u32_e32 v14, vcc, s6, v14
	v_addc_co_u32_e32 v15, vcc, v4, v15, vcc
	global_load_dwordx2 v[14:15], v[14:15], off
	v_mov_b32_e32 v11, v5
	v_lshlrev_b64 v[10:11], 3, v[10:11]
	v_mov_b32_e32 v27, s7
	v_add_co_u32_e32 v10, vcc, s6, v10
	v_addc_co_u32_e32 v11, vcc, v4, v11, vcc
	global_load_dwordx2 v[24:25], v[10:11], off
	v_mov_b32_e32 v10, v5
	v_lshlrev_b64 v[9:10], 3, v[9:10]
	v_add_u32_e32 v26, v17, v21
	v_add_co_u32_e32 v9, vcc, s6, v9
	v_addc_co_u32_e32 v10, vcc, v4, v10, vcc
	global_load_dwordx2 v[10:11], v[9:10], off
	ds_write_b32 v16, v1 offset:4
	ds_write_b64 v19, v[12:13] offset:27648
	v_add_u32_e32 v1, v7, v20
	v_mov_b32_e32 v7, v5
	v_lshlrev_b64 v[6:7], 3, v[6:7]
	v_add_u32_e32 v22, v18, v22
	v_add_co_u32_e32 v6, vcc, s6, v6
	v_addc_co_u32_e32 v7, vcc, v27, v7, vcc
	ds_read_b64 v[12:13], v1
	ds_read_b64 v[17:18], v19 offset:26496
	global_load_dwordx2 v[6:7], v[6:7], off
	v_add_u32_e32 v4, 0x360, v0
	v_lshlrev_b64 v[20:21], 3, v[4:5]
	v_mov_b32_e32 v9, v5
	s_waitcnt lgkmcnt(0)
	v_add_f32_e32 v4, v12, v17
	v_sub_f32_e32 v12, v12, v17
	v_add_f32_e32 v27, v13, v18
	v_sub_f32_e32 v13, v13, v18
	v_mul_f32_e32 v18, 0.5, v12
	v_lshlrev_b64 v[8:9], 3, v[8:9]
	v_mul_f32_e32 v17, 0.5, v27
	v_mul_f32_e32 v12, 0.5, v13
	v_mov_b32_e32 v29, s7
	v_add_co_u32_e32 v8, vcc, s6, v8
	v_addc_co_u32_e32 v9, vcc, v29, v9, vcc
	v_mov_b32_e32 v30, s7
	s_waitcnt vmcnt(3)
	v_mul_f32_e32 v27, v15, v18
	v_fma_f32 v13, v17, v15, v12
	v_fma_f32 v15, v17, v15, -v12
	v_fma_f32 v12, 0.5, v4, v27
	v_fma_f32 v13, -v14, v18, v13
	v_fma_f32 v4, v4, 0.5, -v27
	v_fmac_f32_e32 v12, v14, v17
	v_fma_f32 v15, -v14, v18, v15
	v_fma_f32 v14, -v14, v17, v4
	ds_write_b64 v1, v[12:13]
	ds_write_b64 v19, v[14:15] offset:26496
	ds_read_b64 v[12:13], v26
	ds_read_b64 v[14:15], v19 offset:25344
	global_load_dwordx2 v[8:9], v[8:9], off
	s_waitcnt lgkmcnt(0)
	v_add_f32_e32 v1, v12, v14
	v_sub_f32_e32 v12, v12, v14
	v_add_f32_e32 v4, v13, v15
	v_sub_f32_e32 v13, v13, v15
	v_mul_f32_e32 v14, 0.5, v12
	v_mul_f32_e32 v4, 0.5, v4
	;; [unrolled: 1-line block ×3, first 2 shown]
	s_waitcnt vmcnt(3)
	v_mul_f32_e32 v15, v25, v14
	v_fma_f32 v13, v4, v25, v12
	v_fma_f32 v17, v4, v25, -v12
	v_fma_f32 v12, 0.5, v1, v15
	v_fma_f32 v13, -v24, v14, v13
	v_fma_f32 v1, v1, 0.5, -v15
	v_fmac_f32_e32 v12, v24, v4
	v_fma_f32 v15, -v24, v14, v17
	v_fma_f32 v14, -v24, v4, v1
	ds_write_b64 v26, v[12:13]
	ds_write_b64 v19, v[14:15] offset:25344
	ds_read_b64 v[12:13], v22
	ds_read_b64 v[14:15], v19 offset:24192
	v_add_co_u32_e32 v17, vcc, s6, v20
	v_addc_co_u32_e32 v18, vcc, v30, v21, vcc
	global_load_dwordx2 v[17:18], v[17:18], off
	s_waitcnt lgkmcnt(0)
	v_add_f32_e32 v1, v12, v14
	v_sub_f32_e32 v12, v12, v14
	v_add_f32_e32 v4, v13, v15
	v_sub_f32_e32 v13, v13, v15
	v_mul_f32_e32 v15, 0.5, v12
	s_waitcnt vmcnt(3)
	v_mul_f32_e32 v14, v11, v15
	v_mul_f32_e32 v4, 0.5, v4
	v_mul_f32_e32 v20, 0.5, v13
	v_fma_f32 v12, 0.5, v1, v14
	v_fma_f32 v1, v1, 0.5, -v14
	v_fma_f32 v13, v4, v11, v20
	v_fma_f32 v14, -v10, v4, v1
	v_fma_f32 v1, v4, v11, -v20
	v_fma_f32 v13, -v10, v15, v13
	v_fmac_f32_e32 v12, v10, v4
	v_fma_f32 v15, -v10, v15, v1
	ds_write_b64 v22, v[12:13]
	ds_write_b64 v19, v[14:15] offset:24192
	ds_read_b64 v[10:11], v23
	ds_read_b64 v[12:13], v19 offset:23040
	s_waitcnt lgkmcnt(0)
	v_add_f32_e32 v1, v10, v12
	v_sub_f32_e32 v10, v10, v12
	v_add_f32_e32 v4, v11, v13
	v_sub_f32_e32 v11, v11, v13
	v_mul_f32_e32 v12, 0.5, v10
	v_mul_f32_e32 v4, 0.5, v4
	;; [unrolled: 1-line block ×3, first 2 shown]
	s_waitcnt vmcnt(2)
	v_mul_f32_e32 v14, v7, v12
	v_fma_f32 v10, 0.5, v1, v14
	v_fma_f32 v11, v4, v7, v13
	v_fmac_f32_e32 v10, v6, v4
	v_fma_f32 v11, -v6, v12, v11
	v_fma_f32 v1, v1, 0.5, -v14
	ds_write_b64 v23, v[10:11]
	v_fma_f32 v10, -v6, v4, v1
	v_fma_f32 v1, v4, v7, -v13
	v_add_u32_e32 v4, 0x3f0, v0
	v_fma_f32 v11, -v6, v12, v1
	v_lshlrev_b64 v[12:13], 3, v[4:5]
	v_mov_b32_e32 v1, s7
	v_add_co_u32_e32 v12, vcc, s6, v12
	ds_write_b64 v19, v[10:11] offset:23040
	v_addc_co_u32_e32 v13, vcc, v1, v13, vcc
	ds_read_b64 v[6:7], v28
	ds_read_b64 v[10:11], v19 offset:21888
	global_load_dwordx2 v[12:13], v[12:13], off
	s_waitcnt lgkmcnt(0)
	v_add_f32_e32 v4, v7, v11
	v_mul_f32_e32 v14, 0.5, v4
	v_sub_f32_e32 v4, v6, v10
	v_add_f32_e32 v1, v6, v10
	v_sub_f32_e32 v6, v7, v11
	v_mul_f32_e32 v15, 0.5, v4
	v_add_u32_e32 v4, 0x480, v0
	v_mul_f32_e32 v20, 0.5, v6
	v_lshlrev_b64 v[6:7], 3, v[4:5]
	v_mov_b32_e32 v4, s7
	v_add_co_u32_e32 v6, vcc, s6, v6
	v_addc_co_u32_e32 v7, vcc, v4, v7, vcc
	global_load_dwordx2 v[6:7], v[6:7], off
	s_waitcnt vmcnt(3)
	v_mul_f32_e32 v4, v9, v15
	v_fma_f32 v10, 0.5, v1, v4
	v_fma_f32 v11, v14, v9, v20
	v_fmac_f32_e32 v10, v8, v14
	v_fma_f32 v11, -v8, v15, v11
	v_fma_f32 v1, v1, 0.5, -v4
	ds_write_b64 v28, v[10:11]
	v_fma_f32 v10, -v8, v14, v1
	v_fma_f32 v1, v14, v9, -v20
	v_fma_f32 v11, -v8, v15, v1
	ds_write_b64 v19, v[10:11] offset:21888
	ds_read_b64 v[8:9], v16 offset:6912
	ds_read_b64 v[10:11], v19 offset:20736
	s_waitcnt lgkmcnt(0)
	v_add_f32_e32 v4, v9, v11
	v_add_f32_e32 v1, v8, v10
	v_mul_f32_e32 v14, 0.5, v4
	v_sub_f32_e32 v4, v8, v10
	v_sub_f32_e32 v8, v9, v11
	v_mul_f32_e32 v20, 0.5, v8
	v_mul_f32_e32 v15, 0.5, v4
	s_waitcnt vmcnt(2)
	v_fma_f32 v4, v14, v18, v20
	v_fma_f32 v9, -v17, v15, v4
	v_add_u32_e32 v4, 0x510, v0
	v_mul_f32_e32 v21, v18, v15
	v_lshlrev_b64 v[10:11], 3, v[4:5]
	v_fma_f32 v8, 0.5, v1, v21
	v_fmac_f32_e32 v8, v17, v14
	v_mov_b32_e32 v4, s7
	v_add_co_u32_e32 v10, vcc, s6, v10
	v_fma_f32 v1, v1, 0.5, -v21
	v_addc_co_u32_e32 v11, vcc, v4, v11, vcc
	ds_write_b64 v16, v[8:9] offset:6912
	v_fma_f32 v8, -v17, v14, v1
	v_fma_f32 v1, v14, v18, -v20
	global_load_dwordx2 v[10:11], v[10:11], off
	v_fma_f32 v9, -v17, v15, v1
	ds_write_b64 v19, v[8:9] offset:20736
	ds_read_b64 v[8:9], v16 offset:8064
	ds_read_b64 v[14:15], v19 offset:19584
	s_waitcnt lgkmcnt(0)
	v_add_f32_e32 v4, v9, v15
	v_mul_f32_e32 v20, 0.5, v4
	v_add_u32_e32 v4, 0x5a0, v0
	v_lshlrev_b64 v[17:18], 3, v[4:5]
	v_mov_b32_e32 v4, s7
	v_add_co_u32_e32 v17, vcc, s6, v17
	v_addc_co_u32_e32 v18, vcc, v4, v18, vcc
	global_load_dwordx2 v[17:18], v[17:18], off
	v_add_f32_e32 v1, v8, v14
	v_sub_f32_e32 v8, v8, v14
	v_sub_f32_e32 v4, v9, v15
	v_mul_f32_e32 v14, 0.5, v8
	v_mul_f32_e32 v4, 0.5, v4
	s_waitcnt vmcnt(3)
	v_mul_f32_e32 v15, v13, v14
	v_fma_f32 v8, 0.5, v1, v15
	v_fma_f32 v9, v20, v13, v4
	v_fmac_f32_e32 v8, v12, v20
	v_fma_f32 v9, -v12, v14, v9
	v_fma_f32 v1, v1, 0.5, -v15
	ds_write_b64 v16, v[8:9] offset:8064
	v_fma_f32 v8, -v12, v20, v1
	v_fma_f32 v1, v20, v13, -v4
	v_add_u32_e32 v4, 0x630, v0
	v_fma_f32 v9, -v12, v14, v1
	v_lshlrev_b64 v[14:15], 3, v[4:5]
	v_mov_b32_e32 v1, s7
	v_add_co_u32_e32 v14, vcc, s6, v14
	ds_write_b64 v19, v[8:9] offset:19584
	v_addc_co_u32_e32 v15, vcc, v1, v15, vcc
	ds_read_b64 v[8:9], v16 offset:9216
	ds_read_b64 v[12:13], v19 offset:18432
	global_load_dwordx2 v[14:15], v[14:15], off
	s_waitcnt lgkmcnt(0)
	v_add_f32_e32 v1, v8, v12
	v_sub_f32_e32 v8, v8, v12
	v_add_f32_e32 v4, v9, v13
	v_sub_f32_e32 v9, v9, v13
	v_mul_f32_e32 v12, 0.5, v8
	v_mul_f32_e32 v4, 0.5, v4
	v_mul_f32_e32 v13, 0.5, v9
	s_waitcnt vmcnt(3)
	v_mul_f32_e32 v20, v7, v12
	v_fma_f32 v8, 0.5, v1, v20
	v_fma_f32 v9, v4, v7, v13
	v_fmac_f32_e32 v8, v6, v4
	v_fma_f32 v9, -v6, v12, v9
	v_fma_f32 v1, v1, 0.5, -v20
	ds_write_b64 v16, v[8:9] offset:9216
	v_fma_f32 v8, -v6, v4, v1
	v_fma_f32 v1, v4, v7, -v13
	v_fma_f32 v9, -v6, v12, v1
	ds_write_b64 v19, v[8:9] offset:18432
	ds_read_b64 v[6:7], v16 offset:10368
	ds_read_b64 v[8:9], v19 offset:17280
	s_waitcnt lgkmcnt(0)
	v_add_f32_e32 v1, v6, v8
	v_sub_f32_e32 v6, v6, v8
	v_add_f32_e32 v4, v7, v9
	v_sub_f32_e32 v7, v7, v9
	v_mul_f32_e32 v8, 0.5, v6
	v_mul_f32_e32 v4, 0.5, v4
	v_mul_f32_e32 v9, 0.5, v7
	s_waitcnt vmcnt(2)
	v_mul_f32_e32 v12, v11, v8
	v_fma_f32 v6, 0.5, v1, v12
	v_fma_f32 v7, v4, v11, v9
	v_fmac_f32_e32 v6, v10, v4
	v_fma_f32 v7, -v10, v8, v7
	v_fma_f32 v1, v1, 0.5, -v12
	ds_write_b64 v16, v[6:7] offset:10368
	v_fma_f32 v6, -v10, v4, v1
	v_fma_f32 v1, v4, v11, -v9
	v_fma_f32 v7, -v10, v8, v1
	ds_write_b64 v19, v[6:7] offset:17280
	ds_read_b64 v[6:7], v16 offset:11520
	ds_read_b64 v[8:9], v19 offset:16128
	;; [unrolled: 22-line block ×3, first 2 shown]
	s_waitcnt lgkmcnt(0)
	v_add_f32_e32 v1, v6, v8
	v_sub_f32_e32 v6, v6, v8
	v_add_f32_e32 v4, v7, v9
	v_sub_f32_e32 v7, v7, v9
	v_mul_f32_e32 v8, 0.5, v6
	v_mul_f32_e32 v4, 0.5, v4
	;; [unrolled: 1-line block ×3, first 2 shown]
	s_waitcnt vmcnt(0)
	v_mul_f32_e32 v10, v15, v8
	v_fma_f32 v6, 0.5, v1, v10
	v_fma_f32 v7, v4, v15, v9
	v_fmac_f32_e32 v6, v14, v4
	v_fma_f32 v7, -v14, v8, v7
	v_fma_f32 v1, v1, 0.5, -v10
	ds_write_b64 v16, v[6:7] offset:12672
	v_fma_f32 v6, -v14, v4, v1
	v_fma_f32 v1, v4, v15, -v9
	v_fma_f32 v7, -v14, v8, v1
	ds_write_b64 v19, v[6:7] offset:14976
	s_waitcnt lgkmcnt(0)
	s_barrier
	s_and_saveexec_b64 s[4:5], s[0:1]
	s_cbranch_execz .LBB0_20
; %bb.18:
	v_mov_b32_e32 v1, v5
	ds_read2_b64 v[7:10], v16 offset1:144
	v_mov_b32_e32 v4, s3
	v_add_co_u32_e32 v6, vcc, s2, v2
	v_addc_co_u32_e32 v2, vcc, v4, v3, vcc
	v_lshlrev_b64 v[3:4], 3, v[0:1]
	v_add_u32_e32 v1, 0x800, v16
	ds_read2_b64 v[11:14], v1 offset0:32 offset1:176
	v_add_co_u32_e32 v21, vcc, v6, v3
	v_addc_co_u32_e32 v22, vcc, v2, v4, vcc
	s_waitcnt lgkmcnt(1)
	global_store_dwordx2 v[21:22], v[7:8], off
	global_store_dwordx2 v[21:22], v[9:10], off offset:1152
	s_waitcnt lgkmcnt(0)
	global_store_dwordx2 v[21:22], v[11:12], off offset:2304
	global_store_dwordx2 v[21:22], v[13:14], off offset:3456
	v_add_u32_e32 v1, 0x1000, v16
	ds_read2_b64 v[7:10], v1 offset0:64 offset1:208
	v_add_u32_e32 v1, 0x1800, v16
	s_movk_i32 s0, 0x1000
	ds_read2_b64 v[11:14], v1 offset0:96 offset1:240
	v_add_co_u32_e32 v3, vcc, s0, v21
	v_addc_co_u32_e32 v4, vcc, 0, v22, vcc
	s_waitcnt lgkmcnt(1)
	global_store_dwordx2 v[3:4], v[7:8], off offset:512
	global_store_dwordx2 v[3:4], v[9:10], off offset:1664
	s_waitcnt lgkmcnt(0)
	global_store_dwordx2 v[3:4], v[11:12], off offset:2816
	global_store_dwordx2 v[3:4], v[13:14], off offset:3968
	v_add_u32_e32 v1, 0x2400, v16
	ds_read2_b64 v[7:10], v1 offset1:144
	v_add_u32_e32 v1, 0x2c00, v16
	s_movk_i32 s0, 0x2000
	ds_read2_b64 v[11:14], v1 offset0:32 offset1:176
	v_add_co_u32_e32 v3, vcc, s0, v21
	v_addc_co_u32_e32 v4, vcc, 0, v22, vcc
	s_waitcnt lgkmcnt(1)
	global_store_dwordx2 v[3:4], v[7:8], off offset:1024
	global_store_dwordx2 v[3:4], v[9:10], off offset:2176
	s_waitcnt lgkmcnt(0)
	global_store_dwordx2 v[3:4], v[11:12], off offset:3328
	v_add_u32_e32 v1, 0x3400, v16
	ds_read2_b64 v[7:10], v1 offset0:64 offset1:208
	s_movk_i32 s0, 0x3000
	v_add_u32_e32 v1, 0x3c00, v16
	ds_read2_b64 v[17:20], v1 offset0:96 offset1:240
	v_add_co_u32_e32 v3, vcc, s0, v21
	v_addc_co_u32_e32 v4, vcc, 0, v22, vcc
	global_store_dwordx2 v[3:4], v[13:14], off offset:384
	s_waitcnt lgkmcnt(1)
	global_store_dwordx2 v[3:4], v[7:8], off offset:1536
	global_store_dwordx2 v[3:4], v[9:10], off offset:2688
	s_waitcnt lgkmcnt(0)
	global_store_dwordx2 v[3:4], v[17:18], off offset:3840
	v_add_u32_e32 v1, 0x4800, v16
	s_movk_i32 s0, 0x4000
	v_or_b32_e32 v4, 0x900, v0
	ds_read2_b64 v[7:10], v1 offset1:144
	v_add_co_u32_e32 v11, vcc, s0, v21
	v_lshlrev_b64 v[3:4], 3, v[4:5]
	v_addc_co_u32_e32 v12, vcc, 0, v22, vcc
	v_add_co_u32_e32 v3, vcc, v6, v3
	v_addc_co_u32_e32 v4, vcc, v2, v4, vcc
	global_store_dwordx2 v[11:12], v[19:20], off offset:896
	s_waitcnt lgkmcnt(0)
	global_store_dwordx2 v[3:4], v[7:8], off
	global_store_dwordx2 v[11:12], v[9:10], off offset:3200
	v_add_u32_e32 v1, 0x5000, v16
	ds_read2_b64 v[7:10], v1 offset0:32 offset1:176
	v_add_u32_e32 v1, 0x5800, v16
	s_movk_i32 s0, 0x5000
	ds_read2_b64 v[11:14], v1 offset0:64 offset1:208
	v_add_co_u32_e32 v3, vcc, s0, v21
	v_addc_co_u32_e32 v4, vcc, 0, v22, vcc
	s_waitcnt lgkmcnt(1)
	global_store_dwordx2 v[3:4], v[7:8], off offset:256
	global_store_dwordx2 v[3:4], v[9:10], off offset:1408
	s_waitcnt lgkmcnt(0)
	global_store_dwordx2 v[3:4], v[11:12], off offset:2560
	global_store_dwordx2 v[3:4], v[13:14], off offset:3712
	v_add_u32_e32 v1, 0x6000, v16
	ds_read2_b64 v[7:10], v1 offset0:96 offset1:240
	v_add_co_u32_e32 v3, vcc, 0x6000, v21
	v_addc_co_u32_e32 v4, vcc, 0, v22, vcc
	s_movk_i32 s0, 0x8f
	v_cmp_eq_u32_e32 vcc, s0, v0
	s_waitcnt lgkmcnt(0)
	global_store_dwordx2 v[3:4], v[7:8], off offset:768
	global_store_dwordx2 v[3:4], v[9:10], off offset:1920
	s_and_b64 exec, exec, vcc
	s_cbranch_execz .LBB0_20
; %bb.19:
	v_mov_b32_e32 v0, 0
	ds_read_b64 v[0:1], v0 offset:27648
	v_add_co_u32_e32 v3, vcc, 0x6000, v6
	v_addc_co_u32_e32 v4, vcc, 0, v2, vcc
	s_waitcnt lgkmcnt(0)
	global_store_dwordx2 v[3:4], v[0:1], off offset:3072
.LBB0_20:
	s_endpgm
	.section	.rodata,"a",@progbits
	.p2align	6, 0x0
	.amdhsa_kernel fft_rtc_fwd_len3456_factors_6_6_6_4_4_wgs_144_tpt_144_halfLds_sp_ip_CI_unitstride_sbrr_R2C_dirReg
		.amdhsa_group_segment_fixed_size 0
		.amdhsa_private_segment_fixed_size 0
		.amdhsa_kernarg_size 88
		.amdhsa_user_sgpr_count 6
		.amdhsa_user_sgpr_private_segment_buffer 1
		.amdhsa_user_sgpr_dispatch_ptr 0
		.amdhsa_user_sgpr_queue_ptr 0
		.amdhsa_user_sgpr_kernarg_segment_ptr 1
		.amdhsa_user_sgpr_dispatch_id 0
		.amdhsa_user_sgpr_flat_scratch_init 0
		.amdhsa_user_sgpr_private_segment_size 0
		.amdhsa_uses_dynamic_stack 0
		.amdhsa_system_sgpr_private_segment_wavefront_offset 0
		.amdhsa_system_sgpr_workgroup_id_x 1
		.amdhsa_system_sgpr_workgroup_id_y 0
		.amdhsa_system_sgpr_workgroup_id_z 0
		.amdhsa_system_sgpr_workgroup_info 0
		.amdhsa_system_vgpr_workitem_id 0
		.amdhsa_next_free_vgpr 101
		.amdhsa_next_free_sgpr 22
		.amdhsa_reserve_vcc 1
		.amdhsa_reserve_flat_scratch 0
		.amdhsa_float_round_mode_32 0
		.amdhsa_float_round_mode_16_64 0
		.amdhsa_float_denorm_mode_32 3
		.amdhsa_float_denorm_mode_16_64 3
		.amdhsa_dx10_clamp 1
		.amdhsa_ieee_mode 1
		.amdhsa_fp16_overflow 0
		.amdhsa_exception_fp_ieee_invalid_op 0
		.amdhsa_exception_fp_denorm_src 0
		.amdhsa_exception_fp_ieee_div_zero 0
		.amdhsa_exception_fp_ieee_overflow 0
		.amdhsa_exception_fp_ieee_underflow 0
		.amdhsa_exception_fp_ieee_inexact 0
		.amdhsa_exception_int_div_zero 0
	.end_amdhsa_kernel
	.text
.Lfunc_end0:
	.size	fft_rtc_fwd_len3456_factors_6_6_6_4_4_wgs_144_tpt_144_halfLds_sp_ip_CI_unitstride_sbrr_R2C_dirReg, .Lfunc_end0-fft_rtc_fwd_len3456_factors_6_6_6_4_4_wgs_144_tpt_144_halfLds_sp_ip_CI_unitstride_sbrr_R2C_dirReg
                                        ; -- End function
	.section	.AMDGPU.csdata,"",@progbits
; Kernel info:
; codeLenInByte = 13472
; NumSgprs: 26
; NumVgprs: 101
; ScratchSize: 0
; MemoryBound: 0
; FloatMode: 240
; IeeeMode: 1
; LDSByteSize: 0 bytes/workgroup (compile time only)
; SGPRBlocks: 3
; VGPRBlocks: 25
; NumSGPRsForWavesPerEU: 26
; NumVGPRsForWavesPerEU: 101
; Occupancy: 2
; WaveLimiterHint : 1
; COMPUTE_PGM_RSRC2:SCRATCH_EN: 0
; COMPUTE_PGM_RSRC2:USER_SGPR: 6
; COMPUTE_PGM_RSRC2:TRAP_HANDLER: 0
; COMPUTE_PGM_RSRC2:TGID_X_EN: 1
; COMPUTE_PGM_RSRC2:TGID_Y_EN: 0
; COMPUTE_PGM_RSRC2:TGID_Z_EN: 0
; COMPUTE_PGM_RSRC2:TIDIG_COMP_CNT: 0
	.type	__hip_cuid_54950a2165abd2ee,@object ; @__hip_cuid_54950a2165abd2ee
	.section	.bss,"aw",@nobits
	.globl	__hip_cuid_54950a2165abd2ee
__hip_cuid_54950a2165abd2ee:
	.byte	0                               ; 0x0
	.size	__hip_cuid_54950a2165abd2ee, 1

	.ident	"AMD clang version 19.0.0git (https://github.com/RadeonOpenCompute/llvm-project roc-6.4.0 25133 c7fe45cf4b819c5991fe208aaa96edf142730f1d)"
	.section	".note.GNU-stack","",@progbits
	.addrsig
	.addrsig_sym __hip_cuid_54950a2165abd2ee
	.amdgpu_metadata
---
amdhsa.kernels:
  - .args:
      - .actual_access:  read_only
        .address_space:  global
        .offset:         0
        .size:           8
        .value_kind:     global_buffer
      - .offset:         8
        .size:           8
        .value_kind:     by_value
      - .actual_access:  read_only
        .address_space:  global
        .offset:         16
        .size:           8
        .value_kind:     global_buffer
      - .actual_access:  read_only
        .address_space:  global
        .offset:         24
        .size:           8
        .value_kind:     global_buffer
      - .offset:         32
        .size:           8
        .value_kind:     by_value
      - .actual_access:  read_only
        .address_space:  global
        .offset:         40
        .size:           8
        .value_kind:     global_buffer
      - .actual_access:  read_only
        .address_space:  global
        .offset:         48
        .size:           8
        .value_kind:     global_buffer
      - .offset:         56
        .size:           4
        .value_kind:     by_value
      - .actual_access:  read_only
        .address_space:  global
        .offset:         64
        .size:           8
        .value_kind:     global_buffer
      - .actual_access:  read_only
        .address_space:  global
        .offset:         72
        .size:           8
        .value_kind:     global_buffer
      - .address_space:  global
        .offset:         80
        .size:           8
        .value_kind:     global_buffer
    .group_segment_fixed_size: 0
    .kernarg_segment_align: 8
    .kernarg_segment_size: 88
    .language:       OpenCL C
    .language_version:
      - 2
      - 0
    .max_flat_workgroup_size: 144
    .name:           fft_rtc_fwd_len3456_factors_6_6_6_4_4_wgs_144_tpt_144_halfLds_sp_ip_CI_unitstride_sbrr_R2C_dirReg
    .private_segment_fixed_size: 0
    .sgpr_count:     26
    .sgpr_spill_count: 0
    .symbol:         fft_rtc_fwd_len3456_factors_6_6_6_4_4_wgs_144_tpt_144_halfLds_sp_ip_CI_unitstride_sbrr_R2C_dirReg.kd
    .uniform_work_group_size: 1
    .uses_dynamic_stack: false
    .vgpr_count:     101
    .vgpr_spill_count: 0
    .wavefront_size: 64
amdhsa.target:   amdgcn-amd-amdhsa--gfx906
amdhsa.version:
  - 1
  - 2
...

	.end_amdgpu_metadata
